;; amdgpu-corpus repo=ROCm/rocFFT kind=compiled arch=gfx950 opt=O3
	.text
	.amdgcn_target "amdgcn-amd-amdhsa--gfx950"
	.amdhsa_code_object_version 6
	.protected	bluestein_single_back_len390_dim1_sp_op_CI_CI ; -- Begin function bluestein_single_back_len390_dim1_sp_op_CI_CI
	.globl	bluestein_single_back_len390_dim1_sp_op_CI_CI
	.p2align	8
	.type	bluestein_single_back_len390_dim1_sp_op_CI_CI,@function
bluestein_single_back_len390_dim1_sp_op_CI_CI: ; @bluestein_single_back_len390_dim1_sp_op_CI_CI
; %bb.0:
	s_load_dwordx4 s[8:11], s[0:1], 0x28
	v_mul_u32_u24_e32 v1, 0x691, v0
	v_lshrrev_b32_e32 v2, 16, v1
	v_mad_u64_u32 v[60:61], s[2:3], s2, 3, v[2:3]
	v_mov_b32_e32 v61, 0
	s_waitcnt lgkmcnt(0)
	v_cmp_gt_u64_e32 vcc, s[8:9], v[60:61]
	s_and_saveexec_b64 s[2:3], vcc
	s_cbranch_execz .LBB0_23
; %bb.1:
	v_mul_lo_u16_e32 v1, 39, v2
	s_mov_b32 s4, 0xaaaaaaab
	v_sub_u16_e32 v62, v0, v1
	v_mul_hi_u32 v0, v60, s4
	s_load_dwordx2 s[2:3], s[0:1], 0x0
	s_load_dwordx2 s[8:9], s[0:1], 0x38
	v_lshrrev_b32_e32 v0, 1, v0
	v_lshl_add_u32 v0, v0, 1, v0
	v_sub_u32_e32 v0, v60, v0
	v_mul_u32_u24_e32 v158, 0x186, v0
	v_cmp_gt_u16_e32 vcc, 30, v62
	v_lshlrev_b32_e32 v61, 3, v62
	v_lshlrev_b32_e32 v63, 3, v158
	s_and_saveexec_b64 s[12:13], vcc
	s_cbranch_execz .LBB0_3
; %bb.2:
	s_load_dwordx2 s[4:5], s[0:1], 0x18
	v_mov_b32_e32 v0, s10
	v_mov_b32_e32 v1, s11
	;; [unrolled: 1-line block ×3, first 2 shown]
	v_lshl_add_u32 v54, v62, 3, v63
	s_waitcnt lgkmcnt(0)
	s_load_dwordx4 s[4:7], s[4:5], 0x0
	v_add_u32_e32 v55, v63, v61
	s_waitcnt lgkmcnt(0)
	v_mad_u64_u32 v[2:3], s[10:11], s6, v60, 0
	v_mad_u64_u32 v[4:5], s[10:11], s4, v62, 0
	v_mov_b32_e32 v6, v3
	v_mov_b32_e32 v8, v5
	v_mad_u64_u32 v[6:7], s[6:7], s7, v60, v[6:7]
	v_mov_b32_e32 v3, v6
	v_mad_u64_u32 v[6:7], s[6:7], s5, v62, v[8:9]
	v_mov_b32_e32 v5, v6
	v_lshl_add_u64 v[0:1], v[2:3], 3, v[0:1]
	v_lshl_add_u64 v[0:1], v[4:5], 3, v[0:1]
	global_load_dwordx2 v[2:3], v[0:1], off
	v_mad_u64_u32 v[0:1], s[6:7], s4, v50, v[0:1]
	s_mul_i32 s10, s5, 0xf0
	v_add_u32_e32 v1, s10, v1
	global_load_dwordx2 v[4:5], v[0:1], off
	global_load_dwordx2 v[6:7], v61, s[2:3]
	v_mad_u64_u32 v[0:1], s[6:7], s4, v50, v[0:1]
	v_add_u32_e32 v1, s10, v1
	v_mad_u64_u32 v[8:9], s[6:7], s4, v50, v[0:1]
	v_add_u32_e32 v9, s10, v9
	global_load_dwordx2 v[10:11], v61, s[2:3] offset:240
	global_load_dwordx2 v[12:13], v61, s[2:3] offset:480
	;; [unrolled: 1-line block ×3, first 2 shown]
	global_load_dwordx2 v[16:17], v[0:1], off
	v_mad_u64_u32 v[0:1], s[6:7], s4, v50, v[8:9]
	v_add_u32_e32 v1, s10, v1
	global_load_dwordx2 v[18:19], v[8:9], off
	global_load_dwordx2 v[20:21], v[0:1], off
	v_mad_u64_u32 v[0:1], s[6:7], s4, v50, v[0:1]
	v_add_u32_e32 v1, s10, v1
	global_load_dwordx2 v[8:9], v61, s[2:3] offset:960
	global_load_dwordx2 v[22:23], v[0:1], off
	v_mad_u64_u32 v[0:1], s[6:7], s4, v50, v[0:1]
	v_add_u32_e32 v1, s10, v1
	global_load_dwordx2 v[24:25], v61, s[2:3] offset:1200
	global_load_dwordx2 v[26:27], v[0:1], off
	v_mad_u64_u32 v[0:1], s[6:7], s4, v50, v[0:1]
	v_add_u32_e32 v1, s10, v1
	global_load_dwordx2 v[28:29], v61, s[2:3] offset:1440
	global_load_dwordx2 v[30:31], v[0:1], off
	global_load_dwordx2 v[32:33], v61, s[2:3] offset:1680
	v_mad_u64_u32 v[0:1], s[6:7], s4, v50, v[0:1]
	v_add_u32_e32 v1, s10, v1
	global_load_dwordx2 v[34:35], v[0:1], off
	global_load_dwordx2 v[36:37], v61, s[2:3] offset:1920
	v_mad_u64_u32 v[0:1], s[6:7], s4, v50, v[0:1]
	v_add_u32_e32 v1, s10, v1
	;; [unrolled: 4-line block ×5, first 2 shown]
	global_load_dwordx2 v[50:51], v61, s[2:3] offset:2880
	global_load_dwordx2 v[52:53], v[0:1], off
	s_waitcnt vmcnt(23)
	v_mul_f32_e32 v1, v2, v7
	v_mul_f32_e32 v0, v3, v7
	v_fma_f32 v1, v3, v6, -v1
	v_fmac_f32_e32 v0, v2, v6
	ds_write_b64 v54, v[0:1]
	s_waitcnt vmcnt(22)
	v_mul_f32_e32 v0, v5, v11
	v_mul_f32_e32 v1, v4, v11
	s_waitcnt vmcnt(19)
	v_mul_f32_e32 v2, v17, v13
	v_mul_f32_e32 v3, v16, v13
	v_fmac_f32_e32 v0, v4, v10
	v_fma_f32 v1, v5, v10, -v1
	v_fmac_f32_e32 v2, v16, v12
	v_fma_f32 v3, v17, v12, -v3
	ds_write2_b64 v55, v[0:1], v[2:3] offset0:30 offset1:60
	s_waitcnt vmcnt(18)
	v_mul_f32_e32 v0, v19, v15
	v_mul_f32_e32 v1, v18, v15
	s_waitcnt vmcnt(16)
	v_mul_f32_e32 v2, v21, v9
	v_mul_f32_e32 v3, v20, v9
	v_fmac_f32_e32 v0, v18, v14
	v_fma_f32 v1, v19, v14, -v1
	v_fmac_f32_e32 v2, v20, v8
	v_fma_f32 v3, v21, v8, -v3
	ds_write2_b64 v55, v[0:1], v[2:3] offset0:90 offset1:120
	;; [unrolled: 11-line block ×4, first 2 shown]
	s_waitcnt vmcnt(6)
	v_mul_f32_e32 v0, v39, v41
	v_mul_f32_e32 v1, v38, v41
	s_waitcnt vmcnt(4)
	v_mul_f32_e32 v2, v43, v45
	v_mul_f32_e32 v3, v42, v45
	v_fmac_f32_e32 v0, v38, v40
	v_fma_f32 v1, v39, v40, -v1
	v_fmac_f32_e32 v2, v42, v44
	v_fma_f32 v3, v43, v44, -v3
	v_add_u32_e32 v4, 0x800, v55
	ds_write2_b64 v4, v[0:1], v[2:3] offset0:14 offset1:44
	s_waitcnt vmcnt(2)
	v_mul_f32_e32 v0, v47, v49
	v_mul_f32_e32 v1, v46, v49
	s_waitcnt vmcnt(0)
	v_mul_f32_e32 v2, v53, v51
	v_mul_f32_e32 v3, v52, v51
	v_fmac_f32_e32 v0, v46, v48
	v_fma_f32 v1, v47, v48, -v1
	v_fmac_f32_e32 v2, v52, v50
	v_fma_f32 v3, v53, v50, -v3
	ds_write2_b64 v4, v[0:1], v[2:3] offset0:74 offset1:104
.LBB0_3:
	s_or_b64 exec, exec, s[12:13]
	v_mov_b64_e32 v[0:1], 0
	s_waitcnt lgkmcnt(0)
	s_barrier
	s_waitcnt lgkmcnt(0)
                                        ; implicit-def: $vgpr6
                                        ; implicit-def: $vgpr12
                                        ; implicit-def: $vgpr10
                                        ; implicit-def: $vgpr24
                                        ; implicit-def: $vgpr18
                                        ; implicit-def: $vgpr42
	s_and_saveexec_b64 s[4:5], vcc
	s_cbranch_execz .LBB0_5
; %bb.4:
	v_lshl_add_u32 v20, v158, 3, v61
	ds_read2_b64 v[0:3], v20 offset1:30
	ds_read2_b64 v[16:19], v20 offset0:60 offset1:90
	ds_read2_b64 v[8:11], v20 offset0:120 offset1:150
	;; [unrolled: 1-line block ×3, first 2 shown]
	v_add_u32_e32 v12, 0x400, v20
	v_add_u32_e32 v21, 0x800, v20
	ds_read2_b64 v[12:15], v12 offset0:112 offset1:142
	ds_read2_b64 v[24:27], v21 offset0:44 offset1:74
	ds_read_b64 v[42:43], v20 offset:2880
.LBB0_5:
	s_or_b64 exec, exec, s[4:5]
	s_waitcnt lgkmcnt(1)
	v_pk_add_f32 v[32:33], v[16:17], v[26:27] neg_lo:[0,1] neg_hi:[0,1]
	s_mov_b32 s10, 0x3f29c268
	s_waitcnt lgkmcnt(0)
	v_pk_add_f32 v[40:41], v[2:3], v[42:43] neg_lo:[0,1] neg_hi:[0,1]
	v_pk_add_f32 v[30:31], v[26:27], v[16:17]
	s_mov_b32 s12, 0xbf3f9e67
	v_pk_mul_f32 v[22:23], v[32:33], s[10:11] op_sel_hi:[1,0]
	s_mov_b32 s16, 0xbeedf032
	v_pk_add_f32 v[34:35], v[42:43], v[2:3]
	s_mov_b32 s6, 0xbf6f5d39
	v_pk_fma_f32 v[66:67], v[30:31], s[12:13], v[22:23] op_sel:[0,0,1] op_sel_hi:[1,0,0]
	v_pk_fma_f32 v[52:53], v[30:31], s[12:13], v[22:23] op_sel:[0,0,1] op_sel_hi:[1,0,0] neg_lo:[0,0,1] neg_hi:[0,0,1]
	s_mov_b32 s14, 0x3f62ad3f
	v_pk_mul_f32 v[22:23], v[40:41], s[16:17] op_sel_hi:[1,0]
	s_mov_b32 s26, 0xbf52af12
	s_mov_b32 s4, 0xbeb58ec6
	v_pk_mul_f32 v[20:21], v[40:41], s[6:7] op_sel_hi:[1,0]
	v_pk_fma_f32 v[70:71], v[34:35], s[14:15], v[22:23] op_sel:[0,0,1] op_sel_hi:[1,0,0]
	v_pk_fma_f32 v[68:69], v[34:35], s[14:15], v[22:23] op_sel:[0,0,1] op_sel_hi:[1,0,0] neg_lo:[0,0,1] neg_hi:[0,0,1]
	s_mov_b32 s16, 0x3f116cb1
	v_pk_mul_f32 v[36:37], v[32:33], s[26:27] op_sel_hi:[1,0]
	v_mov_b32_e32 v22, v70
	v_mov_b32_e32 v23, v69
	v_pk_fma_f32 v[76:77], v[34:35], s[4:5], v[20:21] op_sel:[0,0,1] op_sel_hi:[1,0,0]
	v_pk_fma_f32 v[54:55], v[34:35], s[4:5], v[20:21] op_sel:[0,0,1] op_sel_hi:[1,0,0] neg_lo:[0,0,1] neg_hi:[0,0,1]
	v_pk_fma_f32 v[78:79], v[30:31], s[16:17], v[36:37] op_sel:[0,0,1] op_sel_hi:[1,0,0]
	v_pk_fma_f32 v[74:75], v[30:31], s[16:17], v[36:37] op_sel:[0,0,1] op_sel_hi:[1,0,0] neg_lo:[0,0,1] neg_hi:[0,0,1]
	v_pk_add_f32 v[22:23], v[22:23], v[0:1]
	v_mov_b32_e32 v20, v76
	v_mov_b32_e32 v21, v55
	;; [unrolled: 1-line block ×4, first 2 shown]
	v_pk_add_f32 v[20:21], v[20:21], v[0:1]
	v_pk_add_f32 v[22:23], v[36:37], v[22:23]
	v_mov_b32_e32 v36, v66
	v_mov_b32_e32 v37, v53
	v_pk_add_f32 v[44:45], v[18:19], v[24:25] neg_lo:[0,1] neg_hi:[0,1]
	s_mov_b32 s20, 0xbf7e222b
	v_pk_add_f32 v[28:29], v[24:25], v[18:19]
	v_pk_add_f32 v[20:21], v[36:37], v[20:21]
	s_mov_b32 s18, 0x3df6dbef
	v_pk_mul_f32 v[36:37], v[44:45], s[20:21] op_sel_hi:[1,0]
	s_mov_b32 s22, 0x3eedf032
	v_pk_fma_f32 v[80:81], v[28:29], s[18:19], v[36:37] op_sel:[0,0,1] op_sel_hi:[1,0,0]
	v_pk_fma_f32 v[82:83], v[28:29], s[18:19], v[36:37] op_sel:[0,0,1] op_sel_hi:[1,0,0] neg_lo:[0,0,1] neg_hi:[0,0,1]
	v_mov_b32_e32 v36, v80
	v_mov_b32_e32 v37, v83
	v_pk_add_f32 v[22:23], v[36:37], v[22:23]
	v_pk_mul_f32 v[36:37], v[44:45], s[22:23] op_sel_hi:[1,0]
	v_pk_add_f32 v[48:49], v[8:9], v[14:15] neg_lo:[0,1] neg_hi:[0,1]
	v_pk_fma_f32 v[92:93], v[28:29], s[14:15], v[36:37] op_sel:[0,0,1] op_sel_hi:[1,0,0]
	v_pk_fma_f32 v[56:57], v[28:29], s[14:15], v[36:37] op_sel:[0,0,1] op_sel_hi:[1,0,0] neg_lo:[0,0,1] neg_hi:[0,0,1]
	v_mov_b32_e32 v36, v92
	v_mov_b32_e32 v37, v57
	v_pk_add_f32 v[20:21], v[36:37], v[20:21]
	v_pk_add_f32 v[46:47], v[14:15], v[8:9]
	v_pk_mul_f32 v[36:37], v[48:49], s[6:7] op_sel_hi:[1,0]
	s_mov_b32 s24, 0xbf29c268
	v_pk_fma_f32 v[84:85], v[46:47], s[4:5], v[36:37] op_sel:[0,0,1] op_sel_hi:[1,0,0]
	v_pk_fma_f32 v[86:87], v[46:47], s[4:5], v[36:37] op_sel:[0,0,1] op_sel_hi:[1,0,0] neg_lo:[0,0,1] neg_hi:[0,0,1]
	v_mov_b32_e32 v36, v84
	v_mov_b32_e32 v37, v87
	v_pk_add_f32 v[22:23], v[36:37], v[22:23]
	v_pk_mul_f32 v[36:37], v[48:49], s[20:21] op_sel_hi:[1,0]
	v_pk_add_f32 v[102:103], v[10:11], v[12:13] neg_lo:[0,1] neg_hi:[0,1]
	v_pk_fma_f32 v[58:59], v[46:47], s[18:19], v[36:37] op_sel:[0,0,1] op_sel_hi:[1,0,0]
	v_pk_fma_f32 v[64:65], v[46:47], s[18:19], v[36:37] op_sel:[0,0,1] op_sel_hi:[1,0,0] neg_lo:[0,0,1] neg_hi:[0,0,1]
	v_mov_b32_e32 v36, v58
	v_mov_b32_e32 v37, v65
	v_pk_add_f32 v[20:21], v[36:37], v[20:21]
	v_pk_add_f32 v[50:51], v[12:13], v[10:11]
	v_pk_mul_f32 v[36:37], v[102:103], s[24:25] op_sel:[1,0] op_sel_hi:[0,0]
	v_pk_fma_f32 v[98:99], v[50:51], s[12:13], v[36:37] op_sel_hi:[1,0,1]
	v_pk_fma_f32 v[100:101], v[50:51], s[12:13], v[36:37] op_sel_hi:[1,0,1] neg_lo:[0,0,1] neg_hi:[0,0,1]
	v_mov_b32_e32 v36, v98
	v_mov_b32_e32 v37, v101
	v_pk_add_f32 v[22:23], v[36:37], v[22:23]
	v_pk_mul_f32 v[36:37], v[40:41], s[26:27] op_sel_hi:[1,0]
	v_pk_mul_f32 v[38:39], v[32:33], s[6:7] op_sel_hi:[1,0]
	v_pk_fma_f32 v[88:89], v[34:35], s[16:17], v[36:37] op_sel:[0,0,1] op_sel_hi:[1,0,0]
	v_pk_fma_f32 v[90:91], v[34:35], s[16:17], v[36:37] op_sel:[0,0,1] op_sel_hi:[1,0,0] neg_lo:[0,0,1] neg_hi:[0,0,1]
	v_mov_b32_e32 v36, v88
	v_mov_b32_e32 v37, v91
	v_pk_fma_f32 v[94:95], v[30:31], s[4:5], v[38:39] op_sel:[0,0,1] op_sel_hi:[1,0,0]
	v_pk_fma_f32 v[96:97], v[30:31], s[4:5], v[38:39] op_sel:[0,0,1] op_sel_hi:[1,0,0] neg_lo:[0,0,1] neg_hi:[0,0,1]
	v_mov_b32_e32 v38, v94
	v_mov_b32_e32 v39, v97
	v_pk_add_f32 v[36:37], v[36:37], v[0:1]
	s_mov_b32 s34, 0xbe750f2a
	v_pk_add_f32 v[36:37], v[38:39], v[36:37]
	s_mov_b32 s30, 0xbf788fa5
	v_pk_mul_f32 v[38:39], v[44:45], s[34:35] op_sel_hi:[1,0]
	s_mov_b32 s28, 0x3f7e222b
	v_pk_fma_f32 v[104:105], v[28:29], s[30:31], v[38:39] op_sel:[0,0,1] op_sel_hi:[1,0,0]
	v_pk_fma_f32 v[106:107], v[28:29], s[30:31], v[38:39] op_sel:[0,0,1] op_sel_hi:[1,0,0] neg_lo:[0,0,1] neg_hi:[0,0,1]
	v_mov_b32_e32 v38, v104
	v_mov_b32_e32 v39, v107
	v_pk_add_f32 v[36:37], v[38:39], v[36:37]
	v_pk_mul_f32 v[38:39], v[48:49], s[10:11] op_sel_hi:[1,0]
	v_pk_mul_f32 v[72:73], v[32:33], s[34:35] op_sel_hi:[1,0]
	v_pk_fma_f32 v[108:109], v[46:47], s[12:13], v[38:39] op_sel:[0,0,1] op_sel_hi:[1,0,0]
	v_pk_fma_f32 v[110:111], v[46:47], s[12:13], v[38:39] op_sel:[0,0,1] op_sel_hi:[1,0,0] neg_lo:[0,0,1] neg_hi:[0,0,1]
	v_mov_b32_e32 v38, v108
	v_mov_b32_e32 v39, v111
	v_pk_add_f32 v[36:37], v[38:39], v[36:37]
	v_pk_mul_f32 v[38:39], v[102:103], s[28:29] op_sel:[1,0] op_sel_hi:[0,0]
	v_pk_fma_f32 v[116:117], v[50:51], s[18:19], v[38:39] op_sel_hi:[1,0,1]
	v_pk_fma_f32 v[122:123], v[50:51], s[18:19], v[38:39] op_sel_hi:[1,0,1] neg_lo:[0,0,1] neg_hi:[0,0,1]
	v_mov_b32_e32 v38, v116
	v_mov_b32_e32 v39, v123
	v_pk_add_f32 v[36:37], v[38:39], v[36:37]
	v_pk_mul_f32 v[38:39], v[40:41], s[20:21] op_sel_hi:[1,0]
	v_pk_fma_f32 v[118:119], v[30:31], s[30:31], v[72:73] op_sel:[0,0,1] op_sel_hi:[1,0,0]
	v_pk_fma_f32 v[112:113], v[34:35], s[18:19], v[38:39] op_sel:[0,0,1] op_sel_hi:[1,0,0]
	v_pk_fma_f32 v[114:115], v[34:35], s[18:19], v[38:39] op_sel:[0,0,1] op_sel_hi:[1,0,0] neg_lo:[0,0,1] neg_hi:[0,0,1]
	v_mov_b32_e32 v38, v112
	v_mov_b32_e32 v39, v115
	v_pk_fma_f32 v[120:121], v[30:31], s[30:31], v[72:73] op_sel:[0,0,1] op_sel_hi:[1,0,0] neg_lo:[0,0,1] neg_hi:[0,0,1]
	v_mov_b32_e32 v72, v118
	v_mov_b32_e32 v73, v121
	v_pk_add_f32 v[38:39], v[38:39], v[0:1]
	s_mov_b32 s10, 0x3f6f5d39
	v_pk_add_f32 v[38:39], v[72:73], v[38:39]
	v_pk_mul_f32 v[72:73], v[44:45], s[10:11] op_sel_hi:[1,0]
	s_mov_b32 s38, 0x3e750f2a
	v_pk_fma_f32 v[128:129], v[28:29], s[4:5], v[72:73] op_sel:[0,0,1] op_sel_hi:[1,0,0]
	v_pk_fma_f32 v[130:131], v[28:29], s[4:5], v[72:73] op_sel:[0,0,1] op_sel_hi:[1,0,0] neg_lo:[0,0,1] neg_hi:[0,0,1]
	v_mov_b32_e32 v72, v128
	v_mov_b32_e32 v73, v131
	v_pk_add_f32 v[38:39], v[72:73], v[38:39]
	v_pk_mul_f32 v[72:73], v[48:49], s[22:23] op_sel_hi:[1,0]
	v_pk_add_f32 v[152:153], v[4:5], v[6:7] neg_lo:[0,1] neg_hi:[0,1]
	v_pk_fma_f32 v[132:133], v[46:47], s[14:15], v[72:73] op_sel:[0,0,1] op_sel_hi:[1,0,0]
	v_pk_fma_f32 v[134:135], v[46:47], s[14:15], v[72:73] op_sel:[0,0,1] op_sel_hi:[1,0,0] neg_lo:[0,0,1] neg_hi:[0,0,1]
	v_mov_b32_e32 v72, v132
	v_mov_b32_e32 v73, v135
	v_pk_add_f32 v[38:39], v[72:73], v[38:39]
	v_pk_mul_f32 v[72:73], v[102:103], s[26:27] op_sel:[1,0] op_sel_hi:[0,0]
	v_pk_fma_f32 v[136:137], v[50:51], s[16:17], v[72:73] op_sel_hi:[1,0,1]
	v_pk_fma_f32 v[138:139], v[50:51], s[16:17], v[72:73] op_sel_hi:[1,0,1] neg_lo:[0,0,1] neg_hi:[0,0,1]
	v_mov_b32_e32 v72, v136
	v_mov_b32_e32 v73, v139
	v_pk_add_f32 v[38:39], v[72:73], v[38:39]
	v_pk_mul_f32 v[72:73], v[102:103], s[38:39] op_sel:[1,0] op_sel_hi:[0,0]
	v_pk_fma_f32 v[124:125], v[50:51], s[30:31], v[72:73] op_sel_hi:[1,0,1]
	v_pk_fma_f32 v[126:127], v[50:51], s[30:31], v[72:73] op_sel_hi:[1,0,1] neg_lo:[0,0,1] neg_hi:[0,0,1]
	v_mov_b32_e32 v72, v124
	v_mov_b32_e32 v73, v127
	v_pk_add_f32 v[154:155], v[72:73], v[20:21]
	v_pk_add_f32 v[72:73], v[6:7], v[4:5]
	v_pk_mul_f32 v[20:21], v[152:153], s[22:23] op_sel:[1,0] op_sel_hi:[0,0]
	v_pk_fma_f32 v[148:149], v[72:73], s[14:15], v[20:21] op_sel_hi:[1,0,1]
	v_pk_fma_f32 v[150:151], v[72:73], s[14:15], v[20:21] op_sel_hi:[1,0,1] neg_lo:[0,0,1] neg_hi:[0,0,1]
	v_mov_b32_e32 v20, v148
	v_mov_b32_e32 v21, v151
	v_pk_add_f32 v[20:21], v[20:21], v[36:37]
	v_pk_mul_f32 v[36:37], v[152:153], s[24:25] op_sel:[1,0] op_sel_hi:[0,0]
	v_pk_fma_f32 v[144:145], v[72:73], s[12:13], v[36:37] op_sel_hi:[1,0,1]
	v_pk_fma_f32 v[146:147], v[72:73], s[12:13], v[36:37] op_sel_hi:[1,0,1] neg_lo:[0,0,1] neg_hi:[0,0,1]
	v_mov_b32_e32 v36, v144
	v_mov_b32_e32 v37, v147
	s_mov_b32 s36, 0x3f52af12
	v_pk_add_f32 v[38:39], v[36:37], v[38:39]
	v_pk_mul_f32 v[36:37], v[152:153], s[36:37] op_sel:[1,0] op_sel_hi:[0,0]
	v_pk_fma_f32 v[140:141], v[72:73], s[16:17], v[36:37] op_sel_hi:[1,0,1]
	v_pk_fma_f32 v[142:143], v[72:73], s[16:17], v[36:37] op_sel_hi:[1,0,1] neg_lo:[0,0,1] neg_hi:[0,0,1]
	s_load_dwordx2 s[20:21], s[0:1], 0x20
	s_load_dwordx2 s[10:11], s[0:1], 0x8
	v_mov_b32_e32 v36, v140
	v_mov_b32_e32 v37, v143
	v_pk_mul_f32 v[156:157], v[152:153], s[34:35] op_sel:[1,0] op_sel_hi:[0,0]
	v_pk_add_f32 v[36:37], v[36:37], v[154:155]
	v_pk_fma_f32 v[154:155], v[72:73], s[30:31], v[156:157] op_sel_hi:[1,0,1]
	v_pk_fma_f32 v[156:157], v[72:73], s[30:31], v[156:157] op_sel_hi:[1,0,1] neg_lo:[0,0,1] neg_hi:[0,0,1]
	v_mov_b32_e32 v160, v154
	v_mov_b32_e32 v161, v157
	v_pk_add_f32 v[22:23], v[160:161], v[22:23]
	v_mul_lo_u16_e32 v169, 13, v62
	s_waitcnt lgkmcnt(0)
	s_barrier
	s_and_saveexec_b64 s[0:1], vcc
	s_cbranch_execz .LBB0_7
; %bb.6:
	v_pk_add_f32 v[2:3], v[2:3], v[0:1]
	v_mov_b32_e32 v69, v71
	v_pk_add_f32 v[2:3], v[16:17], v[2:3]
	v_mov_b32_e32 v75, v79
	;; [unrolled: 2-line block ×3, first 2 shown]
	v_pk_add_f32 v[2:3], v[8:9], v[2:3]
	v_pk_add_f32 v[8:9], v[68:69], v[0:1]
	;; [unrolled: 1-line block ×7, first 2 shown]
	v_mov_b32_e32 v87, v85
	v_pk_add_f32 v[2:3], v[12:13], v[2:3]
	v_pk_add_f32 v[8:9], v[86:87], v[8:9]
	v_pk_add_f32 v[2:3], v[14:15], v[2:3]
	v_mov_b32_e32 v101, v99
	v_pk_add_f32 v[2:3], v[24:25], v[2:3]
	v_pk_add_f32 v[8:9], v[100:101], v[8:9]
	;; [unrolled: 1-line block ×3, first 2 shown]
	v_mov_b32_e32 v157, v155
	v_pk_add_f32 v[2:3], v[42:43], v[2:3]
	v_add_lshl_u32 v66, v158, v169, 3
	v_pk_add_f32 v[8:9], v[156:157], v[8:9]
	v_mov_b32_e32 v91, v89
	v_mov_b32_e32 v115, v113
	ds_write2_b64 v66, v[2:3], v[8:9] offset1:1
	v_pk_add_f32 v[2:3], v[90:91], v[0:1]
	v_mov_b32_e32 v97, v95
	v_pk_add_f32 v[8:9], v[114:115], v[0:1]
	v_mov_b32_e32 v121, v119
	;; [unrolled: 2-line block ×10, first 2 shown]
	v_pk_add_f32 v[2:3], v[150:151], v[2:3]
	v_pk_add_f32 v[8:9], v[146:147], v[8:9]
	ds_write2_b64 v66, v[2:3], v[8:9] offset0:2 offset1:3
	v_pk_mul_f32 v[8:9], v[40:41], s[24:25] op_sel_hi:[1,0]
	v_pk_mul_f32 v[14:15], v[32:33], s[28:29] op_sel_hi:[1,0]
	v_pk_fma_f32 v[10:11], v[34:35], s[12:13], v[8:9] op_sel:[0,0,1] op_sel_hi:[1,0,0] neg_lo:[0,0,1] neg_hi:[0,0,1]
	v_pk_fma_f32 v[8:9], v[34:35], s[12:13], v[8:9] op_sel:[0,0,1] op_sel_hi:[1,0,0]
	v_mov_b32_e32 v12, v10
	v_mov_b32_e32 v13, v9
	v_pk_fma_f32 v[16:17], v[30:31], s[18:19], v[14:15] op_sel:[0,0,1] op_sel_hi:[1,0,0] neg_lo:[0,0,1] neg_hi:[0,0,1]
	v_pk_fma_f32 v[14:15], v[30:31], s[18:19], v[14:15] op_sel:[0,0,1] op_sel_hi:[1,0,0]
	v_pk_add_f32 v[12:13], v[12:13], v[0:1]
	v_mov_b32_e32 v18, v16
	v_mov_b32_e32 v19, v15
	v_pk_add_f32 v[12:13], v[18:19], v[12:13]
	v_pk_mul_f32 v[18:19], v[44:45], s[26:27] op_sel_hi:[1,0]
	v_mov_b32_e32 v55, v77
	v_pk_fma_f32 v[24:25], v[28:29], s[16:17], v[18:19] op_sel:[0,0,1] op_sel_hi:[1,0,0] neg_lo:[0,0,1] neg_hi:[0,0,1]
	v_pk_fma_f32 v[18:19], v[28:29], s[16:17], v[18:19] op_sel:[0,0,1] op_sel_hi:[1,0,0]
	v_mov_b32_e32 v26, v24
	v_mov_b32_e32 v27, v19
	v_pk_add_f32 v[12:13], v[26:27], v[12:13]
	v_pk_mul_f32 v[26:27], v[48:49], s[38:39] op_sel_hi:[1,0]
	v_mov_b32_e32 v53, v67
	v_pk_add_f32 v[2:3], v[54:55], v[0:1]
	v_pk_fma_f32 v[42:43], v[46:47], s[30:31], v[26:27] op_sel:[0,0,1] op_sel_hi:[1,0,0] neg_lo:[0,0,1] neg_hi:[0,0,1]
	v_pk_fma_f32 v[26:27], v[46:47], s[30:31], v[26:27] op_sel:[0,0,1] op_sel_hi:[1,0,0]
	v_mov_b32_e32 v4, v103
	v_mov_b32_e32 v5, v102
	v_pk_add_f32 v[2:3], v[52:53], v[2:3]
	v_mov_b32_e32 v52, v42
	v_mov_b32_e32 v53, v27
	v_pk_add_f32 v[12:13], v[52:53], v[12:13]
	v_pk_mul_f32 v[52:53], v[4:5], s[22:23] op_sel_hi:[1,0]
	v_mov_b32_e32 v57, v93
	v_pk_fma_f32 v[54:55], v[50:51], s[14:15], v[52:53] op_sel_hi:[1,0,1] neg_lo:[0,0,1] neg_hi:[0,0,1]
	v_pk_fma_f32 v[52:53], v[50:51], s[14:15], v[52:53] op_sel_hi:[1,0,1]
	v_mov_b32_e32 v6, v153
	v_mov_b32_e32 v7, v152
	v_pk_add_f32 v[2:3], v[56:57], v[2:3]
	v_mov_b32_e32 v56, v54
	v_mov_b32_e32 v57, v53
	;; [unrolled: 1-line block ×3, first 2 shown]
	v_pk_add_f32 v[12:13], v[56:57], v[12:13]
	v_pk_mul_f32 v[56:57], v[6:7], s[6:7] op_sel_hi:[1,0]
	v_pk_add_f32 v[2:3], v[64:65], v[2:3]
	v_mov_b32_e32 v127, v125
	v_pk_fma_f32 v[58:59], v[72:73], s[4:5], v[56:57] op_sel_hi:[1,0,1] neg_lo:[0,0,1] neg_hi:[0,0,1]
	v_pk_fma_f32 v[56:57], v[72:73], s[4:5], v[56:57] op_sel_hi:[1,0,1]
	v_pk_add_f32 v[2:3], v[126:127], v[2:3]
	v_mov_b32_e32 v143, v141
	v_mov_b32_e32 v64, v58
	;; [unrolled: 1-line block ×3, first 2 shown]
	v_pk_add_f32 v[2:3], v[142:143], v[2:3]
	v_pk_add_f32 v[12:13], v[64:65], v[12:13]
	ds_write2_b64 v66, v[2:3], v[12:13] offset0:4 offset1:5
	v_pk_mul_f32 v[2:3], v[40:41], s[34:35] op_sel_hi:[1,0]
	v_pk_mul_f32 v[32:33], v[32:33], s[22:23] op_sel_hi:[1,0]
	v_pk_fma_f32 v[12:13], v[34:35], s[30:31], v[2:3] op_sel:[0,0,1] op_sel_hi:[1,0,0] neg_lo:[0,0,1] neg_hi:[0,0,1]
	v_pk_fma_f32 v[2:3], v[34:35], s[30:31], v[2:3] op_sel:[0,0,1] op_sel_hi:[1,0,0]
	v_mov_b32_e32 v34, v12
	v_mov_b32_e32 v35, v3
	v_pk_fma_f32 v[40:41], v[30:31], s[14:15], v[32:33] op_sel:[0,0,1] op_sel_hi:[1,0,0] neg_lo:[0,0,1] neg_hi:[0,0,1]
	v_pk_fma_f32 v[30:31], v[30:31], s[14:15], v[32:33] op_sel:[0,0,1] op_sel_hi:[1,0,0]
	v_pk_add_f32 v[34:35], v[34:35], v[0:1]
	v_mov_b32_e32 v32, v40
	v_mov_b32_e32 v33, v31
	v_pk_add_f32 v[32:33], v[32:33], v[34:35]
	v_pk_mul_f32 v[34:35], v[44:45], s[24:25] op_sel_hi:[1,0]
	v_mov_b32_e32 v3, v13
	v_pk_fma_f32 v[44:45], v[28:29], s[12:13], v[34:35] op_sel:[0,0,1] op_sel_hi:[1,0,0] neg_lo:[0,0,1] neg_hi:[0,0,1]
	v_pk_fma_f32 v[28:29], v[28:29], s[12:13], v[34:35] op_sel:[0,0,1] op_sel_hi:[1,0,0]
	v_mov_b32_e32 v34, v44
	v_mov_b32_e32 v35, v29
	v_pk_add_f32 v[32:33], v[34:35], v[32:33]
	v_pk_mul_f32 v[34:35], v[48:49], s[36:37] op_sel_hi:[1,0]
	v_mov_b32_e32 v9, v11
	v_pk_fma_f32 v[48:49], v[46:47], s[16:17], v[34:35] op_sel:[0,0,1] op_sel_hi:[1,0,0] neg_lo:[0,0,1] neg_hi:[0,0,1]
	v_pk_fma_f32 v[34:35], v[46:47], s[16:17], v[34:35] op_sel:[0,0,1] op_sel_hi:[1,0,0]
	v_mov_b32_e32 v46, v48
	v_mov_b32_e32 v47, v35
	v_pk_mul_f32 v[4:5], v[4:5], s[6:7] op_sel_hi:[1,0]
	v_pk_add_f32 v[2:3], v[2:3], v[0:1]
	v_mov_b32_e32 v31, v41
	v_pk_add_f32 v[0:1], v[8:9], v[0:1]
	v_mov_b32_e32 v15, v17
	v_pk_add_f32 v[32:33], v[46:47], v[32:33]
	v_pk_fma_f32 v[46:47], v[50:51], s[4:5], v[4:5] op_sel_hi:[1,0,1] neg_lo:[0,0,1] neg_hi:[0,0,1]
	v_pk_fma_f32 v[4:5], v[50:51], s[4:5], v[4:5] op_sel_hi:[1,0,1]
	v_pk_add_f32 v[2:3], v[30:31], v[2:3]
	v_mov_b32_e32 v29, v45
	v_pk_add_f32 v[0:1], v[14:15], v[0:1]
	v_mov_b32_e32 v19, v25
	v_mov_b32_e32 v50, v46
	v_mov_b32_e32 v51, v5
	v_pk_mul_f32 v[6:7], v[6:7], s[28:29] op_sel_hi:[1,0]
	v_pk_add_f32 v[2:3], v[28:29], v[2:3]
	v_mov_b32_e32 v35, v49
	v_pk_add_f32 v[0:1], v[18:19], v[0:1]
	v_mov_b32_e32 v27, v43
	v_pk_add_f32 v[32:33], v[50:51], v[32:33]
	v_pk_fma_f32 v[50:51], v[72:73], s[18:19], v[6:7] op_sel_hi:[1,0,1] neg_lo:[0,0,1] neg_hi:[0,0,1]
	v_pk_fma_f32 v[6:7], v[72:73], s[18:19], v[6:7] op_sel_hi:[1,0,1]
	v_pk_add_f32 v[2:3], v[34:35], v[2:3]
	v_mov_b32_e32 v5, v47
	v_pk_add_f32 v[0:1], v[26:27], v[0:1]
	v_mov_b32_e32 v53, v55
	v_mov_b32_e32 v64, v50
	;; [unrolled: 1-line block ×3, first 2 shown]
	v_pk_add_f32 v[2:3], v[4:5], v[2:3]
	v_mov_b32_e32 v7, v51
	v_pk_add_f32 v[0:1], v[52:53], v[0:1]
	v_mov_b32_e32 v57, v59
	v_pk_add_f32 v[32:33], v[64:65], v[32:33]
	v_pk_add_f32 v[2:3], v[6:7], v[2:3]
	;; [unrolled: 1-line block ×3, first 2 shown]
	ds_write2_b64 v66, v[32:33], v[2:3] offset0:6 offset1:7
	ds_write2_b64 v66, v[0:1], v[36:37] offset0:8 offset1:9
	;; [unrolled: 1-line block ×3, first 2 shown]
	ds_write_b64 v66, v[22:23] offset:96
.LBB0_7:
	s_or_b64 exec, exec, s[0:1]
	v_add_lshl_u32 v166, v158, v62, 3
	v_add_u32_e32 v0, 0x800, v166
	s_waitcnt lgkmcnt(0)
	s_barrier
	ds_read2_b64 v[28:31], v166 offset1:39
	ds_read2_b64 v[16:19], v166 offset0:78 offset1:130
	ds_read2_b64 v[32:35], v0 offset0:4 offset1:43
	;; [unrolled: 1-line block ×3, first 2 shown]
	ds_read_b64 v[40:41], v166 offset:2704
	v_cmp_gt_u16_e64 s[0:1], 13, v62
	s_and_saveexec_b64 s[4:5], s[0:1]
	s_cbranch_execz .LBB0_9
; %bb.8:
	ds_read2_b64 v[0:3], v166 offset0:117 offset1:247
	ds_read_b64 v[20:21], v166 offset:3016
	s_waitcnt lgkmcnt(1)
	v_mov_b64_e32 v[36:37], v[0:1]
	v_mov_b64_e32 v[38:39], v[2:3]
.LBB0_9:
	s_or_b64 exec, exec, s[4:5]
	s_movk_i32 s4, 0x4f
	v_mul_lo_u16_sdwa v0, v62, s4 dst_sel:DWORD dst_unused:UNUSED_PAD src0_sel:BYTE_0 src1_sel:DWORD
	v_add_u16_e32 v1, 39, v62
	v_lshrrev_b16_e32 v42, 10, v0
	v_mul_lo_u16_sdwa v2, v1, s4 dst_sel:DWORD dst_unused:UNUSED_PAD src0_sel:BYTE_0 src1_sel:DWORD
	v_mul_lo_u16_e32 v0, 13, v42
	v_lshrrev_b16_e32 v44, 10, v2
	v_sub_u16_e32 v43, v62, v0
	v_mov_b32_e32 v12, 4
	v_mul_lo_u16_e32 v2, 13, v44
	v_lshlrev_b32_sdwa v0, v12, v43 dst_sel:DWORD dst_unused:UNUSED_PAD src0_sel:DWORD src1_sel:BYTE_0
	v_sub_u16_e32 v45, v1, v2
	v_lshlrev_b32_sdwa v1, v12, v45 dst_sel:DWORD dst_unused:UNUSED_PAD src0_sel:DWORD src1_sel:BYTE_0
	global_load_dwordx4 v[8:11], v0, s[10:11]
	global_load_dwordx4 v[4:7], v1, s[10:11]
	v_add_u16_e32 v0, 0x75, v62
	v_mul_lo_u16_sdwa v1, v0, s4 dst_sel:DWORD dst_unused:UNUSED_PAD src0_sel:BYTE_0 src1_sel:DWORD
	v_lshrrev_b16_e32 v1, 10, v1
	v_mul_lo_u16_e32 v1, 13, v1
	v_sub_u16_e32 v168, v0, v1
	v_lshlrev_b16_e32 v0, 1, v168
	v_and_b32_e32 v0, 0xfe, v0
	v_lshlrev_b32_e32 v0, 3, v0
	global_load_dwordx4 v[0:3], v0, s[10:11]
	v_add_u16_e32 v13, 0x4e, v62
	v_mul_lo_u16_sdwa v14, v13, s4 dst_sel:DWORD dst_unused:UNUSED_PAD src0_sel:BYTE_0 src1_sel:DWORD
	v_lshrrev_b16_e32 v56, 10, v14
	v_mul_lo_u16_e32 v14, 13, v56
	v_sub_u16_e32 v57, v13, v14
	v_lshlrev_b32_sdwa v12, v12, v57 dst_sel:DWORD dst_unused:UNUSED_PAD src0_sel:DWORD src1_sel:BYTE_0
	global_load_dwordx4 v[12:15], v12, s[10:11]
	v_mul_u32_u24_e32 v42, 39, v42
	v_mul_u32_u24_e32 v44, 39, v44
	v_add_u32_sdwa v42, v42, v43 dst_sel:DWORD dst_unused:UNUSED_PAD src0_sel:DWORD src1_sel:BYTE_0
	v_add_u32_sdwa v43, v44, v45 dst_sel:DWORD dst_unused:UNUSED_PAD src0_sel:DWORD src1_sel:BYTE_0
	v_add_lshl_u32 v171, v158, v42, 3
	v_add_lshl_u32 v170, v158, v43, 3
	s_mov_b32 s12, 0x3f5db3d7
	s_load_dwordx4 s[4:7], s[20:21], 0x0
	s_waitcnt lgkmcnt(0)
	s_barrier
	s_waitcnt vmcnt(3)
	v_pk_mul_f32 v[42:43], v[18:19], v[8:9] op_sel:[0,1]
	v_mov_b32_e32 v44, v11
	s_waitcnt vmcnt(2)
	v_pk_mul_f32 v[46:47], v[24:25], v[4:5] op_sel:[0,1]
	v_mov_b32_e32 v48, v7
	v_pk_fma_f32 v[50:51], v[18:19], v[8:9], v[42:43] op_sel:[0,0,1] op_sel_hi:[1,1,0] neg_lo:[0,0,1] neg_hi:[0,0,1]
	v_pk_fma_f32 v[18:19], v[18:19], v[8:9], v[42:43] op_sel:[0,0,1] op_sel_hi:[1,0,0]
	v_pk_mul_f32 v[42:43], v[32:33], v[44:45] op_sel_hi:[1,0]
	v_pk_fma_f32 v[44:45], v[24:25], v[4:5], v[46:47] op_sel:[0,0,1] op_sel_hi:[1,1,0] neg_lo:[0,0,1] neg_hi:[0,0,1]
	v_pk_fma_f32 v[24:25], v[24:25], v[4:5], v[46:47] op_sel:[0,0,1] op_sel_hi:[1,0,0]
	v_pk_mul_f32 v[46:47], v[34:35], v[48:49] op_sel_hi:[1,0]
	s_waitcnt vmcnt(1)
	v_pk_mul_f32 v[48:49], v[38:39], v[0:1] op_sel:[1,0]
	v_pk_mul_f32 v[52:53], v[20:21], v[2:3] op_sel:[1,0]
	v_pk_fma_f32 v[54:55], v[32:33], v[10:11], v[42:43] op_sel:[0,0,1] op_sel_hi:[1,1,0] neg_lo:[0,0,1] neg_hi:[0,0,1]
	v_pk_fma_f32 v[32:33], v[32:33], v[10:11], v[42:43] op_sel:[0,0,1] op_sel_hi:[1,0,0]
	v_mov_b32_e32 v51, v19
	v_mov_b32_e32 v45, v25
	v_pk_fma_f32 v[42:43], v[34:35], v[6:7], v[46:47] op_sel:[0,0,1] op_sel_hi:[1,1,0] neg_lo:[0,0,1] neg_hi:[0,0,1]
	v_pk_fma_f32 v[34:35], v[34:35], v[6:7], v[46:47] op_sel:[0,0,1] op_sel_hi:[1,0,0]
	v_pk_fma_f32 v[18:19], v[38:39], v[0:1], v[48:49] op_sel:[0,0,1] op_sel_hi:[1,1,0] neg_lo:[0,0,1] neg_hi:[0,0,1]
	v_pk_fma_f32 v[38:39], v[38:39], v[0:1], v[48:49] op_sel:[0,0,1] op_sel_hi:[0,1,0]
	;; [unrolled: 2-line block ×3, first 2 shown]
	v_mov_b32_e32 v55, v33
	v_mov_b32_e32 v43, v35
	v_pk_add_f32 v[34:35], v[30:31], v[44:45]
	v_mov_b32_e32 v19, v39
	v_mov_b32_e32 v25, v21
	v_pk_add_f32 v[20:21], v[50:51], v[54:55]
	v_pk_add_f32 v[38:39], v[50:51], v[54:55] neg_lo:[0,1] neg_hi:[0,1]
	v_pk_add_f32 v[32:33], v[28:29], v[50:51]
	v_pk_add_f32 v[34:35], v[34:35], v[42:43]
	;; [unrolled: 1-line block ×3, first 2 shown]
	v_pk_add_f32 v[42:43], v[44:45], v[42:43] neg_lo:[0,1] neg_hi:[0,1]
	v_pk_add_f32 v[44:45], v[18:19], v[24:25]
	v_pk_add_f32 v[48:49], v[18:19], v[24:25] neg_lo:[0,1] neg_hi:[0,1]
	v_pk_fma_f32 v[20:21], v[20:21], 0.5, v[28:29] op_sel_hi:[1,0,1] neg_lo:[1,0,0] neg_hi:[1,0,0]
	v_pk_mul_f32 v[28:29], v[38:39], s[12:13] op_sel_hi:[1,0]
	v_pk_fma_f32 v[30:31], v[46:47], 0.5, v[30:31] op_sel_hi:[1,0,1] neg_lo:[1,0,0] neg_hi:[1,0,0]
	v_pk_fma_f32 v[38:39], v[44:45], 0.5, v[36:37] op_sel_hi:[1,0,1] neg_lo:[1,0,0] neg_hi:[1,0,0]
	v_pk_mul_f32 v[44:45], v[48:49], s[12:13] op_sel_hi:[1,0]
	v_pk_add_f32 v[46:47], v[20:21], v[28:29] op_sel:[0,1] op_sel_hi:[1,0]
	v_pk_add_f32 v[28:29], v[20:21], v[28:29] op_sel:[0,1] op_sel_hi:[1,0] neg_lo:[0,1] neg_hi:[0,1]
	v_pk_add_f32 v[32:33], v[32:33], v[54:55]
	v_pk_add_f32 v[48:49], v[38:39], v[44:45] op_sel:[0,1] op_sel_hi:[1,0]
	v_pk_add_f32 v[20:21], v[38:39], v[44:45] op_sel:[0,1] op_sel_hi:[1,0] neg_lo:[0,1] neg_hi:[0,1]
	v_mov_b32_e32 v44, v46
	v_mov_b32_e32 v45, v29
	;; [unrolled: 1-line block ×3, first 2 shown]
	ds_write2_b64 v171, v[32:33], v[44:45] offset1:13
	ds_write_b64 v171, v[28:29] offset:208
	v_pk_mul_f32 v[28:29], v[42:43], s[12:13] op_sel_hi:[1,0]
	v_mov_b32_e32 v38, v48
	v_pk_add_f32 v[32:33], v[30:31], v[28:29] op_sel:[0,1] op_sel_hi:[1,0]
	v_pk_add_f32 v[28:29], v[30:31], v[28:29] op_sel:[0,1] op_sel_hi:[1,0] neg_lo:[0,1] neg_hi:[0,1]
	v_mov_b32_e32 v30, v32
	v_mov_b32_e32 v31, v29
	;; [unrolled: 1-line block ×3, first 2 shown]
	ds_write_b64 v170, v[28:29] offset:208
	v_mul_u32_u24_e32 v28, 39, v56
	v_add_u32_sdwa v28, v28, v57 dst_sel:DWORD dst_unused:UNUSED_PAD src0_sel:DWORD src1_sel:BYTE_0
	v_add_lshl_u32 v172, v158, v28, 3
	s_waitcnt vmcnt(0)
	v_pk_mul_f32 v[28:29], v[26:27], v[12:13] op_sel:[0,1]
	ds_write2_b64 v170, v[34:35], v[30:31] offset1:13
	v_pk_fma_f32 v[30:31], v[26:27], v[12:13], v[28:29] op_sel:[0,0,1] op_sel_hi:[1,1,0] neg_lo:[0,0,1] neg_hi:[0,0,1]
	v_pk_fma_f32 v[26:27], v[26:27], v[12:13], v[28:29] op_sel:[0,0,1] op_sel_hi:[1,0,0]
	v_mov_b32_e32 v39, v21
	v_mov_b32_e32 v26, v15
	;; [unrolled: 1-line block ×3, first 2 shown]
	v_pk_mul_f32 v[26:27], v[40:41], v[26:27] op_sel_hi:[1,0]
	v_mov_b32_e32 v21, v49
	v_pk_fma_f32 v[28:29], v[40:41], v[14:15], v[26:27] op_sel:[0,0,1] op_sel_hi:[1,1,0] neg_lo:[0,0,1] neg_hi:[0,0,1]
	v_pk_fma_f32 v[26:27], v[40:41], v[14:15], v[26:27] op_sel:[0,0,1] op_sel_hi:[1,0,0]
	s_nop 0
	v_mov_b32_e32 v29, v27
	v_pk_add_f32 v[26:27], v[16:17], v[30:31]
	v_pk_add_f32 v[32:33], v[30:31], v[28:29]
	;; [unrolled: 1-line block ×3, first 2 shown]
	v_pk_add_f32 v[28:29], v[30:31], v[28:29] neg_lo:[0,1] neg_hi:[0,1]
	v_pk_fma_f32 v[16:17], v[32:33], 0.5, v[16:17] op_sel_hi:[1,0,1] neg_lo:[1,0,0] neg_hi:[1,0,0]
	v_pk_mul_f32 v[28:29], v[28:29], s[12:13] op_sel_hi:[1,0]
	s_nop 0
	v_pk_add_f32 v[30:31], v[16:17], v[28:29] op_sel:[0,1] op_sel_hi:[1,0]
	v_pk_add_f32 v[16:17], v[16:17], v[28:29] op_sel:[0,1] op_sel_hi:[1,0] neg_lo:[0,1] neg_hi:[0,1]
	v_mov_b32_e32 v28, v30
	v_mov_b32_e32 v29, v17
	;; [unrolled: 1-line block ×3, first 2 shown]
	ds_write2_b64 v172, v[26:27], v[28:29] offset1:13
	ds_write_b64 v172, v[16:17] offset:208
	s_and_saveexec_b64 s[12:13], s[0:1]
	s_cbranch_execz .LBB0_11
; %bb.10:
	v_and_b32_e32 v16, 0xff, v168
	v_add_lshl_u32 v26, v158, v16, 3
	v_pk_add_f32 v[16:17], v[36:37], v[18:19]
	v_add_u32_e32 v18, 0x800, v26
	v_pk_add_f32 v[16:17], v[16:17], v[24:25]
	ds_write2_b64 v18, v[16:17], v[38:39] offset0:95 offset1:108
	ds_write_b64 v26, v[20:21] offset:3016
.LBB0_11:
	s_or_b64 exec, exec, s[12:13]
	s_movk_i32 s12, 0x48
	v_mov_b64_e32 v[16:17], s[10:11]
	v_mad_u64_u32 v[36:37], s[10:11], v62, s12, v[16:17]
	s_waitcnt lgkmcnt(0)
	s_barrier
	global_load_dwordx4 v[32:35], v[36:37], off offset:208
	global_load_dwordx4 v[28:31], v[36:37], off offset:224
	;; [unrolled: 1-line block ×4, first 2 shown]
	global_load_dwordx2 v[64:65], v[36:37], off offset:272
	ds_read2_b64 v[40:43], v166 offset1:39
	ds_read2_b64 v[44:47], v166 offset0:117 offset1:156
	ds_read2_b64 v[48:51], v166 offset0:195 offset1:234
	v_add_u32_e32 v52, 0x800, v166
	ds_read_b64 v[36:37], v166 offset:624
	ds_read_b64 v[56:57], v166 offset:2808
	ds_read2_b64 v[52:55], v52 offset0:17 offset1:56
	s_waitcnt lgkmcnt(5)
	v_mov_b32_e32 v58, v43
	s_mov_b32 s10, 0x3f737871
	s_waitcnt lgkmcnt(3)
	v_mov_b32_e32 v66, v49
	s_mov_b32 s11, 0x3f167918
	s_waitcnt lgkmcnt(0)
	v_mov_b32_e32 v59, v54
	v_mov_b32_e32 v68, v53
	s_mov_b32 s14, s11
	s_mov_b32 s15, s10
	;; [unrolled: 1-line block ×5, first 2 shown]
	v_lshl_add_u32 v167, v62, 3, v63
	s_waitcnt vmcnt(4)
	v_pk_mul_f32 v[70:71], v[42:43], v[32:33]
	v_pk_mul_f32 v[72:73], v[58:59], v[32:33]
	s_waitcnt vmcnt(2)
	v_pk_mul_f32 v[66:67], v[66:67], v[24:25]
	v_mov_b32_e32 v58, v33
	v_mov_b32_e32 v70, v35
	;; [unrolled: 1-line block ×4, first 2 shown]
	v_pk_mul_f32 v[84:85], v[46:47], v[30:31] op_sel:[1,0] op_sel_hi:[0,1]
	v_mov_b32_e32 v88, v25
	v_mov_b32_e32 v90, v27
	v_pk_mul_f32 v[92:93], v[50:51], v[26:27] op_sel:[1,0] op_sel_hi:[0,1]
	s_waitcnt vmcnt(1)
	v_mov_b32_e32 v96, v17
	v_mov_b32_e32 v67, v18
	v_pk_mul_f32 v[74:75], v[36:37], v[34:35] op_sel:[1,0] op_sel_hi:[0,1]
	v_pk_mul_f32 v[76:77], v[44:45], v[28:29]
	v_pk_mul_f32 v[80:81], v[44:45], v[28:29] op_sel:[1,0] op_sel_hi:[0,1]
	v_pk_mul_f32 v[86:87], v[48:49], v[24:25]
	v_pk_mul_f32 v[94:95], v[52:53], v[16:17]
	;; [unrolled: 1-line block ×4, first 2 shown]
	s_waitcnt vmcnt(0)
	v_pk_mul_f32 v[104:105], v[56:57], v[64:65] op_sel:[1,0] op_sel_hi:[0,1]
	v_mov_b32_e32 v106, v71
	v_pk_mul_f32 v[70:71], v[36:37], v[70:71] op_sel:[1,0] op_sel_hi:[0,1]
	v_pk_mul_f32 v[44:45], v[44:45], v[78:79] op_sel:[1,0] op_sel_hi:[0,1]
	;; [unrolled: 1-line block ×3, first 2 shown]
	v_pk_mul_f32 v[48:49], v[48:49], v[88:89]
	v_pk_mul_f32 v[82:83], v[50:51], v[90:91] op_sel:[1,0] op_sel_hi:[0,1]
	v_mov_b32_e32 v88, v84
	v_mov_b32_e32 v89, v92
	;; [unrolled: 1-line block ×3, first 2 shown]
	v_pk_mul_f32 v[52:53], v[52:53], v[96:97]
	v_pk_mul_f32 v[90:91], v[54:55], v[66:67]
	v_mov_b32_e32 v100, v75
	v_mov_b32_e32 v67, v80
	;; [unrolled: 1-line block ×3, first 2 shown]
	v_pk_fma_f32 v[36:37], v[36:37], v[34:35], v[70:71] neg_lo:[0,0,1] neg_hi:[0,0,1]
	v_pk_add_f32 v[70:71], v[88:89], v[92:93]
	v_mov_b32_e32 v90, v74
	v_mov_b32_e32 v49, v81
	v_mov_b32_e32 v53, v105
	v_pk_mul_f32 v[58:59], v[42:43], v[58:59]
	v_pk_add_f32 v[74:75], v[90:91], v[100:101]
	v_mov_b32_e32 v45, v70
	v_pk_add_f32 v[48:49], v[66:67], v[48:49]
	v_pk_add_f32 v[52:53], v[68:69], v[52:53]
	v_pk_mul_f32 v[98:99], v[54:55], v[18:19]
	v_pk_add_f32 v[68:69], v[44:45], v[70:71]
	v_add_f32_e32 v45, v74, v75
	v_mov_b32_e32 v73, v48
	v_mov_b32_e32 v59, v52
	;; [unrolled: 1-line block ×4, first 2 shown]
	v_mul_f32_e32 v67, 0.5, v45
	v_pk_add_f32 v[58:59], v[72:73], v[58:59]
	v_mov_b32_e32 v68, v49
	v_add_f32_e32 v45, v49, v53
	v_pk_mul_f32 v[102:103], v[56:57], v[64:65]
	v_pk_mul_f32 v[56:57], v[56:57], v[98:99] op_sel:[1,0] op_sel_hi:[0,1]
	v_pk_fma_f32 v[54:55], v[54:55], v[18:19], v[84:85] neg_lo:[0,0,1] neg_hi:[0,0,1]
	v_pk_add_f32 v[72:73], v[58:59], v[68:69]
	v_fma_f32 v84, -0.5, v59, v58
	v_fmac_f32_e32 v58, -0.5, v45
	v_mov_b32_e32 v77, v86
	v_mov_b32_e32 v45, v87
	v_pk_fma_f32 v[42:43], v[42:43], v[32:33], v[106:107] neg_lo:[0,0,1] neg_hi:[0,0,1]
	v_pk_add_f32 v[44:45], v[76:77], v[44:45] neg_lo:[0,1] neg_hi:[0,1]
	v_mov_b32_e32 v103, v94
	v_mov_b32_e32 v57, v95
	v_pk_add_f32 v[56:57], v[102:103], v[56:57] neg_lo:[0,1] neg_hi:[0,1]
	v_pk_add_f32 v[76:77], v[42:43], v[44:45]
	v_mov_b32_e32 v43, v44
	v_pk_add_f32 v[86:87], v[44:45], v[56:57]
	v_pk_add_f32 v[92:93], v[42:43], v[44:45] neg_lo:[0,1] neg_hi:[0,1]
	v_mov_b32_e32 v43, v56
	v_pk_add_f32 v[80:81], v[48:49], v[52:53] neg_lo:[0,1] neg_hi:[0,1]
	v_pk_add_f32 v[72:73], v[72:73], v[48:49]
	v_pk_add_f32 v[88:89], v[68:69], v[48:49] neg_lo:[0,1] neg_hi:[0,1]
	v_mov_b32_e32 v68, v53
	v_fma_f32 v85, -0.5, v87, v42
	v_pk_add_f32 v[94:95], v[42:43], v[56:57] neg_lo:[0,1] neg_hi:[0,1]
	v_fmac_f32_e32 v42, -0.5, v86
	v_mov_b32_e32 v86, v45
	v_mov_b32_e32 v87, v57
	;; [unrolled: 1-line block ×4, first 2 shown]
	v_pk_fma_f32 v[50:51], v[50:51], v[26:27], v[82:83] neg_lo:[0,0,1] neg_hi:[0,0,1]
	v_pk_mul_f32 v[82:83], v[80:81], s[10:11]
	v_pk_add_f32 v[72:73], v[72:73], v[52:53]
	v_pk_add_f32 v[90:91], v[68:69], v[52:53] neg_lo:[0,1] neg_hi:[0,1]
	v_pk_add_f32 v[86:87], v[86:87], v[96:97] neg_lo:[0,1] neg_hi:[0,1]
	v_mov_b32_e32 v96, v48
	v_mov_b32_e32 v97, v52
	;; [unrolled: 1-line block ×3, first 2 shown]
	v_pk_fma_f32 v[46:47], v[46:47], v[30:31], v[78:79] neg_lo:[0,0,1] neg_hi:[0,0,1]
	v_mov_b32_e32 v68, v45
	v_sub_f32_e32 v43, v42, v82
	v_add_f32_e32 v42, v82, v42
	v_pk_add_f32 v[44:45], v[44:45], v[56:57] neg_lo:[0,1] neg_hi:[0,1]
	v_pk_add_f32 v[48:49], v[96:97], v[52:53] neg_lo:[0,1] neg_hi:[0,1]
	v_pk_add_f32 v[78:79], v[46:47], v[50:51]
	v_add_f32_e32 v55, v36, v54
	v_fmamk_f32 v73, v81, 0x3f737871, v85
	v_fmac_f32_e32 v85, 0xbf737871, v81
	v_add_f32_e32 v43, v83, v43
	v_sub_f32_e32 v59, v42, v83
	v_fmamk_f32 v81, v44, 0xbf737871, v84
	v_fmac_f32_e32 v84, 0x3f737871, v44
	v_pk_mul_f32 v[82:83], v[44:45], s[14:15]
	v_mov_b32_e32 v44, v49
	v_mul_f32_e32 v66, 0.5, v55
	v_pk_add_f32 v[76:77], v[76:77], v[68:69]
	v_mov_b32_e32 v68, v57
	v_add_f32_e32 v42, v83, v58
	v_pk_add_f32 v[48:49], v[48:49], v[44:45]
	v_sub_f32_e32 v44, v58, v83
	v_mov_b32_e32 v79, v69
	v_pk_add_f32 v[76:77], v[76:77], v[68:69]
	v_sub_f32_e32 v42, v42, v82
	v_add_f32_e32 v58, v82, v44
	v_pk_add_f32 v[82:83], v[40:41], v[36:37]
	v_pk_fma_f32 v[68:69], -0.5, v[78:79], v[40:41] op_sel_hi:[0,1,1]
	v_pk_add_f32 v[66:67], v[40:41], v[66:67] neg_lo:[0,1] neg_hi:[0,1]
	v_mov_b32_e32 v40, v41
	v_pk_add_f32 v[40:41], v[40:41], v[74:75]
	v_mov_b32_e32 v55, v86
	v_pk_add_f32 v[40:41], v[40:41], v[70:71]
	v_pk_add_f32 v[82:83], v[82:83], v[46:47]
	v_mov_b32_e32 v37, v40
	v_pk_add_f32 v[86:87], v[54:55], v[86:87]
	v_pk_add_f32 v[82:83], v[82:83], v[50:51]
	;; [unrolled: 1-line block ×3, first 2 shown]
	v_mov_b32_e32 v55, v75
	v_mov_b32_e32 v37, v74
	;; [unrolled: 1-line block ×8, first 2 shown]
	v_pk_add_f32 v[74:75], v[36:37], v[46:47] neg_lo:[0,1] neg_hi:[0,1]
	v_pk_add_f32 v[36:37], v[46:47], v[36:37] neg_lo:[0,1] neg_hi:[0,1]
	;; [unrolled: 1-line block ×3, first 2 shown]
	v_mov_b32_e32 v44, v45
	v_mov_b32_e32 v45, v80
	;; [unrolled: 1-line block ×8, first 2 shown]
	v_pk_add_f32 v[70:71], v[54:55], v[50:51] neg_lo:[0,1] neg_hi:[0,1]
	s_mov_b32 s14, 0x3e9e377a
	v_pk_add_f32 v[36:37], v[36:37], v[46:47]
	v_pk_mul_f32 v[46:47], v[44:45], s[12:13] op_sel_hi:[1,0]
	v_pk_add_f32 v[50:51], v[88:89], v[90:91]
	v_mov_b32_e32 v97, v54
	v_pk_add_f32 v[40:41], v[82:83], v[54:55]
	v_add_f32_e32 v47, v47, v73
	v_pk_mul_f32 v[54:55], v[50:51], s[14:15] op_sel_hi:[1,0]
	v_sub_f32_e32 v46, v81, v46
	v_add_f32_e32 v47, v55, v47
	v_add_f32_e32 v46, v54, v46
	v_pk_fma_f32 v[54:55], v[44:45], s[12:13], v[84:85] op_sel_hi:[1,0,1]
	v_pk_fma_f32 v[44:45], v[44:45], s[12:13], v[84:85] op_sel_hi:[1,0,1] neg_lo:[1,0,0] neg_hi:[1,0,0]
	v_mov_b32_e32 v49, v87
	v_pk_add_f32 v[78:79], v[78:79], v[96:97] neg_lo:[0,1] neg_hi:[0,1]
	v_mov_b32_e32 v55, v45
	v_pk_fma_f32 v[42:43], v[48:49], s[14:15], v[42:43] op_sel_hi:[1,0,1]
	v_pk_fma_f32 v[44:45], v[48:49], s[14:15], v[58:59] op_sel_hi:[1,0,1]
	v_pk_mul_f32 v[48:49], v[46:47], s[16:17] op_sel_hi:[1,0]
	v_pk_fma_f32 v[96:97], v[78:79], s[10:11], v[68:69] op_sel_hi:[1,0,1]
	v_pk_add_f32 v[98:99], v[98:99], v[100:101] neg_lo:[0,1] neg_hi:[0,1]
	v_pk_fma_f32 v[68:69], v[78:79], s[10:11], v[68:69] op_sel_hi:[1,0,1] neg_lo:[1,0,0] neg_hi:[1,0,0]
	v_pk_fma_f32 v[50:51], v[50:51], s[14:15], v[54:55] op_sel_hi:[1,0,1]
	v_pk_fma_f32 v[54:55], v[46:47], s[12:13], v[48:49] op_sel:[0,0,1] op_sel_hi:[1,0,0]
	v_pk_fma_f32 v[46:47], v[46:47], s[12:13], v[48:49] op_sel:[0,0,1] op_sel_hi:[1,0,0] neg_lo:[1,0,0] neg_hi:[1,0,0]
	v_pk_fma_f32 v[68:69], v[98:99], s[12:13], v[68:69] op_sel_hi:[1,0,1] neg_lo:[1,0,0] neg_hi:[1,0,0]
	v_pk_add_f32 v[70:71], v[74:75], v[70:71]
	v_pk_fma_f32 v[74:75], v[98:99], s[12:13], v[96:97] op_sel_hi:[1,0,1]
	v_mov_b32_e32 v55, v47
	v_pk_mul_f32 v[46:47], v[42:43], s[10:11] op_sel_hi:[1,0]
	v_pk_fma_f32 v[100:101], v[98:99], s[10:11], v[66:67] op_sel_hi:[1,0,1] neg_lo:[1,0,0] neg_hi:[1,0,0]
	v_mov_b32_e32 v82, v74
	v_mov_b32_e32 v83, v69
	;; [unrolled: 1-line block ×3, first 2 shown]
	v_pk_fma_f32 v[66:67], v[98:99], s[10:11], v[66:67] op_sel_hi:[1,0,1]
	v_mov_b32_e32 v77, v72
	v_mov_b32_e32 v57, v53
	v_pk_fma_f32 v[48:49], v[42:43], s[14:15], v[46:47] op_sel:[0,0,1] op_sel_hi:[1,0,0]
	v_pk_fma_f32 v[42:43], v[42:43], s[14:15], v[46:47] op_sel:[0,0,1] op_sel_hi:[1,0,0] neg_lo:[0,0,1] neg_hi:[0,0,1]
	v_pk_fma_f32 v[82:83], v[70:71], s[14:15], v[82:83] op_sel_hi:[1,0,1]
	v_pk_fma_f32 v[68:69], v[70:71], s[14:15], v[68:69] op_sel_hi:[1,0,1]
	v_pk_fma_f32 v[66:67], v[78:79], s[12:13], v[66:67] op_sel_hi:[1,0,1] neg_lo:[1,0,0] neg_hi:[1,0,0]
	v_pk_fma_f32 v[70:71], v[78:79], s[12:13], v[100:101] op_sel_hi:[1,0,1]
	v_pk_add_f32 v[52:53], v[76:77], v[56:57]
	v_mov_b32_e32 v57, v42
	s_mov_b32 s12, s10
	v_pk_mul_f32 v[42:43], v[44:45], s[14:15] op_sel_hi:[1,0]
	v_mov_b32_e32 v74, v70
	v_mov_b32_e32 v75, v67
	;; [unrolled: 1-line block ×3, first 2 shown]
	v_pk_fma_f32 v[42:43], v[44:45], s[12:13], v[42:43] op_sel:[0,0,1] op_sel_hi:[1,1,0] neg_lo:[0,0,1] neg_hi:[0,0,1]
	s_mov_b32 s13, 0xbf167918
	s_mov_b32 s12, s11
	v_pk_mul_f32 v[58:59], v[50:51], s[16:17] op_sel_hi:[1,0]
	v_pk_fma_f32 v[74:75], v[36:37], s[14:15], v[74:75] op_sel_hi:[1,0,1]
	v_pk_fma_f32 v[36:37], v[36:37], s[14:15], v[66:67] op_sel_hi:[1,0,1]
	v_mov_b32_e32 v56, v49
	v_pk_fma_f32 v[70:71], v[50:51], s[12:13], v[58:59] op_sel:[0,0,1] op_sel_hi:[1,1,0] neg_lo:[0,0,1] neg_hi:[0,0,1]
	v_pk_add_f32 v[66:67], v[40:41], v[52:53]
	v_pk_add_f32 v[44:45], v[82:83], v[54:55]
	;; [unrolled: 1-line block ×5, first 2 shown]
	v_pk_add_f32 v[52:53], v[40:41], v[52:53] neg_lo:[0,1] neg_hi:[0,1]
	v_pk_add_f32 v[54:55], v[82:83], v[54:55] neg_lo:[0,1] neg_hi:[0,1]
	;; [unrolled: 1-line block ×5, first 2 shown]
	v_add_u32_e32 v40, 0x800, v167
	ds_write_b64 v167, v[66:67]
	ds_write2_b64 v167, v[44:45], v[46:47] offset0:39 offset1:78
	ds_write2_b64 v167, v[48:49], v[50:51] offset0:117 offset1:156
	;; [unrolled: 1-line block ×4, first 2 shown]
	ds_write_b64 v167, v[36:37] offset:2808
	s_waitcnt lgkmcnt(0)
	s_barrier
	s_and_saveexec_b64 s[10:11], vcc
	s_cbranch_execz .LBB0_13
; %bb.12:
	global_load_dwordx2 v[68:69], v61, s[2:3] offset:3120
	ds_read_b64 v[42:43], v167
	s_add_u32 s12, s2, 0xc30
	s_addc_u32 s13, s3, 0
	s_waitcnt vmcnt(0) lgkmcnt(0)
	v_mul_f32_e32 v41, v43, v69
	v_mul_f32_e32 v71, v42, v69
	v_fma_f32 v70, v42, v68, -v41
	v_fmac_f32_e32 v71, v43, v68
	global_load_dwordx2 v[42:43], v61, s[12:13] offset:240
	ds_write_b64 v167, v[70:71]
	ds_read2_b64 v[68:71], v167 offset0:30 offset1:60
	s_waitcnt vmcnt(0) lgkmcnt(0)
	v_mul_f32_e32 v41, v69, v43
	v_mul_f32_e32 v73, v68, v43
	v_fma_f32 v72, v68, v42, -v41
	v_fmac_f32_e32 v73, v69, v42
	global_load_dwordx2 v[42:43], v61, s[12:13] offset:480
	s_waitcnt vmcnt(0)
	v_mul_f32_e32 v41, v71, v43
	v_mul_f32_e32 v69, v70, v43
	v_fma_f32 v68, v70, v42, -v41
	v_fmac_f32_e32 v69, v71, v42
	global_load_dwordx2 v[42:43], v61, s[12:13] offset:720
	ds_write2_b64 v167, v[72:73], v[68:69] offset0:30 offset1:60
	ds_read2_b64 v[68:71], v167 offset0:90 offset1:120
	s_waitcnt vmcnt(0) lgkmcnt(0)
	v_mul_f32_e32 v41, v69, v43
	v_mul_f32_e32 v73, v68, v43
	v_fma_f32 v72, v68, v42, -v41
	v_fmac_f32_e32 v73, v69, v42
	global_load_dwordx2 v[42:43], v61, s[12:13] offset:960
	s_waitcnt vmcnt(0)
	v_mul_f32_e32 v41, v71, v43
	v_mul_f32_e32 v69, v70, v43
	v_fma_f32 v68, v70, v42, -v41
	v_fmac_f32_e32 v69, v71, v42
	global_load_dwordx2 v[42:43], v61, s[12:13] offset:1200
	ds_write2_b64 v167, v[72:73], v[68:69] offset0:90 offset1:120
	;; [unrolled: 14-line block ×5, first 2 shown]
	ds_read2_b64 v[68:71], v40 offset0:74 offset1:104
	s_waitcnt vmcnt(0) lgkmcnt(0)
	v_mul_f32_e32 v41, v69, v43
	v_mul_f32_e32 v73, v68, v43
	v_fma_f32 v72, v68, v42, -v41
	v_fmac_f32_e32 v73, v69, v42
	global_load_dwordx2 v[42:43], v61, s[12:13] offset:2880
	s_waitcnt vmcnt(0)
	v_mul_f32_e32 v41, v71, v43
	v_mul_f32_e32 v69, v70, v43
	v_fma_f32 v68, v70, v42, -v41
	v_fmac_f32_e32 v69, v71, v42
	ds_write2_b64 v40, v[72:73], v[68:69] offset0:74 offset1:104
.LBB0_13:
	s_or_b64 exec, exec, s[10:11]
	s_waitcnt lgkmcnt(0)
	s_barrier
	s_and_saveexec_b64 s[10:11], vcc
	s_cbranch_execz .LBB0_15
; %bb.14:
	ds_read_b64 v[66:67], v167
	ds_read2_b64 v[44:47], v167 offset0:30 offset1:60
	ds_read2_b64 v[48:51], v167 offset0:90 offset1:120
	;; [unrolled: 1-line block ×4, first 2 shown]
	v_add_u32_e32 v20, 0x800, v167
	ds_read2_b64 v[36:39], v20 offset0:14 offset1:44
	ds_read2_b64 v[20:23], v20 offset0:74 offset1:104
.LBB0_15:
	s_or_b64 exec, exec, s[10:11]
	s_waitcnt lgkmcnt(0)
	v_pk_add_f32 v[40:41], v[44:45], v[22:23] neg_lo:[0,1] neg_hi:[0,1]
	v_pk_add_f32 v[92:93], v[44:45], v[22:23]
	v_mov_b32_e32 v69, v40
	v_mov_b32_e32 v68, v92
	v_mov_b32_e32 v92, v41
	v_pk_add_f32 v[40:41], v[46:47], v[20:21] neg_lo:[0,1] neg_hi:[0,1]
	v_pk_add_f32 v[90:91], v[46:47], v[20:21]
	v_mov_b32_e32 v71, v40
	v_mov_b32_e32 v70, v90
	v_mov_b32_e32 v90, v41
	;; [unrolled: 5-line block ×3, first 2 shown]
	v_pk_add_f32 v[40:41], v[50:51], v[36:37] neg_lo:[0,1] neg_hi:[0,1]
	v_pk_add_f32 v[86:87], v[50:51], v[36:37]
	s_mov_b32 s30, 0xbf52af12
	v_mov_b32_e32 v74, v86
	v_mov_b32_e32 v75, v40
	;; [unrolled: 1-line block ×3, first 2 shown]
	v_pk_add_f32 v[40:41], v[52:53], v[58:59] neg_lo:[0,1] neg_hi:[0,1]
	v_pk_add_f32 v[84:85], v[52:53], v[58:59]
	s_mov_b32 s31, 0x3f116cb1
	s_mov_b32 s22, 0xbf6f5d39
	v_mov_b32_e32 v76, v84
	v_mov_b32_e32 v77, v40
	;; [unrolled: 1-line block ×3, first 2 shown]
	v_pk_add_f32 v[40:41], v[54:55], v[56:57] neg_lo:[0,1] neg_hi:[0,1]
	v_pk_add_f32 v[82:83], v[54:55], v[56:57]
	v_pk_mul_f32 v[96:97], v[92:93], s[30:31]
	s_mov_b32 s10, s31
	s_mov_b32 s11, s30
	;; [unrolled: 1-line block ×3, first 2 shown]
	v_mov_b32_e32 v78, v82
	v_mov_b32_e32 v79, v40
	;; [unrolled: 1-line block ×3, first 2 shown]
	v_pk_fma_f32 v[40:41], v[68:69], s[10:11], v[96:97] neg_lo:[0,0,1] neg_hi:[0,0,1]
	v_pk_fma_f32 v[94:95], v[68:69], s[10:11], v[96:97]
	v_pk_mul_f32 v[100:101], v[90:91], s[22:23]
	s_mov_b32 s12, s23
	s_mov_b32 s13, s22
	;; [unrolled: 1-line block ×3, first 2 shown]
	v_mov_b32_e32 v41, v95
	v_pk_fma_f32 v[42:43], v[70:71], s[12:13], v[100:101] neg_lo:[0,0,1] neg_hi:[0,0,1]
	v_pk_fma_f32 v[98:99], v[70:71], s[12:13], v[100:101]
	s_mov_b32 s29, 0xbf788fa5
	v_pk_add_f32 v[40:41], v[66:67], v[40:41]
	v_mov_b32_e32 v43, v99
	v_pk_mul_f32 v[102:103], v[88:89], s[28:29]
	s_mov_b32 s14, s29
	s_mov_b32 s15, s28
	s_mov_b32 s34, 0x3f29c268
	v_pk_add_f32 v[40:41], v[42:43], v[40:41]
	v_pk_fma_f32 v[42:43], v[72:73], s[14:15], v[102:103] neg_lo:[0,0,1] neg_hi:[0,0,1]
	v_pk_fma_f32 v[104:105], v[72:73], s[14:15], v[102:103]
	s_mov_b32 s35, 0xbf3f9e67
	v_mov_b32_e32 v43, v105
	v_pk_mul_f32 v[106:107], v[86:87], s[34:35]
	s_mov_b32 s48, s35
	s_mov_b32 s49, s34
	s_mov_b32 s26, 0x3f7e222b
	v_pk_add_f32 v[40:41], v[42:43], v[40:41]
	v_pk_fma_f32 v[42:43], v[74:75], s[48:49], v[106:107] neg_lo:[0,0,1] neg_hi:[0,0,1]
	v_pk_fma_f32 v[108:109], v[74:75], s[48:49], v[106:107]
	s_mov_b32 s27, 0x3df6dbef
	;; [unrolled: 9-line block ×3, first 2 shown]
	v_mov_b32_e32 v43, v113
	v_pk_mul_f32 v[114:115], v[82:83], s[36:37]
	s_mov_b32 s20, s37
	s_mov_b32 s21, s36
	v_pk_add_f32 v[40:41], v[42:43], v[40:41]
	v_pk_fma_f32 v[42:43], v[78:79], s[20:21], v[114:115] neg_lo:[0,0,1] neg_hi:[0,0,1]
	v_pk_fma_f32 v[116:117], v[78:79], s[20:21], v[114:115]
	s_mov_b32 s52, 0xbf7e222b
	s_mov_b32 s53, s27
	v_mov_b32_e32 v43, v117
	v_pk_mul_f32 v[118:119], v[92:93], s[52:53]
	s_mov_b32 s16, s27
	s_mov_b32 s17, s52
	v_pk_add_f32 v[42:43], v[42:43], v[40:41]
	v_pk_fma_f32 v[40:41], v[68:69], s[16:17], v[118:119] neg_lo:[0,0,1] neg_hi:[0,0,1]
	v_pk_fma_f32 v[120:121], v[68:69], s[16:17], v[118:119]
	v_pk_mul_f32 v[124:125], v[90:91], s[28:29]
	v_mov_b32_e32 v41, v121
	v_pk_fma_f32 v[80:81], v[70:71], s[14:15], v[124:125] neg_lo:[0,0,1] neg_hi:[0,0,1]
	v_pk_fma_f32 v[122:123], v[70:71], s[14:15], v[124:125]
	s_mov_b32 s24, 0x3f6f5d39
	s_mov_b32 s25, s23
	v_pk_add_f32 v[40:41], v[66:67], v[40:41]
	v_mov_b32_e32 v81, v123
	v_pk_mul_f32 v[126:127], v[88:89], s[24:25]
	s_mov_b32 s42, s23
	s_mov_b32 s43, s24
	v_pk_add_f32 v[40:41], v[80:81], v[40:41]
	v_pk_fma_f32 v[80:81], v[72:73], s[42:43], v[126:127] neg_lo:[0,0,1] neg_hi:[0,0,1]
	v_pk_fma_f32 v[128:129], v[72:73], s[42:43], v[126:127]
	v_pk_mul_f32 v[132:133], v[86:87], s[36:37]
	v_mov_b32_e32 v81, v129
	v_pk_add_f32 v[40:41], v[80:81], v[40:41]
	v_pk_fma_f32 v[80:81], v[74:75], s[20:21], v[132:133] neg_lo:[0,0,1] neg_hi:[0,0,1]
	v_pk_fma_f32 v[130:131], v[74:75], s[20:21], v[132:133]
	v_pk_mul_f32 v[136:137], v[84:85], s[30:31]
	v_mov_b32_e32 v81, v131
	v_pk_add_f32 v[40:41], v[80:81], v[40:41]
	v_pk_fma_f32 v[80:81], v[76:77], s[10:11], v[136:137] neg_lo:[0,0,1] neg_hi:[0,0,1]
	v_pk_fma_f32 v[134:135], v[76:77], s[10:11], v[136:137]
	s_mov_b32 s40, 0xbf29c268
	s_mov_b32 s41, s35
	v_mov_b32_e32 v81, v135
	v_pk_mul_f32 v[146:147], v[82:83], s[40:41]
	s_mov_b32 s24, s35
	s_mov_b32 s25, s40
	v_pk_add_f32 v[40:41], v[80:81], v[40:41]
	v_pk_fma_f32 v[80:81], v[78:79], s[24:25], v[146:147] neg_lo:[0,0,1] neg_hi:[0,0,1]
	v_pk_fma_f32 v[152:153], v[78:79], s[24:25], v[146:147]
	v_pk_mul_f32 v[140:141], v[92:93], s[22:23]
	v_mov_b32_e32 v81, v153
	v_pk_add_f32 v[40:41], v[80:81], v[40:41]
	v_pk_fma_f32 v[80:81], v[68:69], s[12:13], v[140:141] neg_lo:[0,0,1] neg_hi:[0,0,1]
	v_pk_fma_f32 v[138:139], v[68:69], s[12:13], v[140:141]
	v_pk_mul_f32 v[144:145], v[90:91], s[34:35]
	v_mov_b32_e32 v81, v139
	v_pk_fma_f32 v[148:149], v[70:71], s[48:49], v[144:145] neg_lo:[0,0,1] neg_hi:[0,0,1]
	v_pk_fma_f32 v[142:143], v[70:71], s[48:49], v[144:145]
	v_pk_add_f32 v[80:81], v[66:67], v[80:81]
	v_mov_b32_e32 v149, v143
	v_pk_mul_f32 v[150:151], v[88:89], s[36:37]
	v_pk_add_f32 v[80:81], v[148:149], v[80:81]
	v_pk_fma_f32 v[154:155], v[72:73], s[20:21], v[150:151] neg_lo:[0,0,1] neg_hi:[0,0,1]
	v_pk_fma_f32 v[148:149], v[72:73], s[20:21], v[150:151]
	v_pk_mul_f32 v[156:157], v[86:87], s[52:53]
	v_mov_b32_e32 v155, v149
	v_pk_add_f32 v[80:81], v[154:155], v[80:81]
	v_pk_fma_f32 v[158:159], v[74:75], s[16:17], v[156:157] neg_lo:[0,0,1] neg_hi:[0,0,1]
	v_pk_fma_f32 v[154:155], v[74:75], s[16:17], v[156:157]
	s_mov_b32 s50, 0x3e750f2a
	v_mov_b32_e32 v159, v155
	s_mov_b32 s51, s29
	v_pk_add_f32 v[80:81], v[158:159], v[80:81]
	v_pk_mul_f32 v[158:159], v[84:85], s[50:51]
	s_mov_b32 s38, s29
	s_mov_b32 s39, s50
	v_pk_fma_f32 v[162:163], v[76:77], s[38:39], v[158:159] neg_lo:[0,0,1] neg_hi:[0,0,1]
	v_pk_fma_f32 v[160:161], v[76:77], s[38:39], v[158:159]
	s_mov_b32 s46, 0x3f52af12
	s_mov_b32 s47, s31
	v_mov_b32_e32 v163, v161
	s_mov_b32 s44, s31
	s_mov_b32 s45, s46
	v_pk_mul_f32 v[164:165], v[82:83], s[46:47]
	v_pk_add_f32 v[80:81], v[162:163], v[80:81]
	v_pk_fma_f32 v[174:175], v[78:79], s[44:45], v[164:165] neg_lo:[0,0,1] neg_hi:[0,0,1]
	v_pk_fma_f32 v[162:163], v[78:79], s[44:45], v[164:165]
	s_nop 0
	v_mov_b32_e32 v175, v163
	v_pk_add_f32 v[80:81], v[174:175], v[80:81]
	s_barrier
	s_and_saveexec_b64 s[34:35], vcc
	s_cbranch_execz .LBB0_17
; %bb.16:
	v_pk_add_f32 v[44:45], v[44:45], v[66:67]
	v_pk_mul_f32 v[190:191], v[72:73], s[42:43]
	v_pk_add_f32 v[44:45], v[46:47], v[44:45]
	s_mov_b32 s43, 0xbeedf032
	v_pk_add_f32 v[44:45], v[48:49], v[44:45]
	s_mov_b32 s54, s43
	;; [unrolled: 2-line block ×4, first 2 shown]
	v_pk_add_f32 v[44:45], v[54:55], v[44:45]
	v_pk_mul_f32 v[178:179], v[72:73], s[14:15]
	v_pk_add_f32 v[44:45], v[56:57], v[44:45]
	v_pk_mul_f32 v[174:175], v[68:69], s[10:11]
	;; [unrolled: 2-line block ×3, first 2 shown]
	v_pk_add_f32 v[36:37], v[36:37], v[44:45]
	v_pk_add_f32 v[102:103], v[102:103], v[178:179] neg_lo:[0,1] neg_hi:[0,1]
	v_pk_add_f32 v[36:37], v[38:39], v[36:37]
	v_pk_mul_f32 v[38:39], v[90:91], s[30:31]
	v_pk_add_f32 v[20:21], v[20:21], v[36:37]
	v_pk_fma_f32 v[46:47], v[70:71], s[10:11], v[38:39] neg_lo:[1,0,0] neg_hi:[1,0,0]
	v_pk_add_f32 v[194:195], v[22:23], v[20:21]
	v_pk_mul_f32 v[22:23], v[92:93], s[54:55]
	v_pk_mul_f32 v[176:177], v[70:71], s[12:13]
	v_pk_fma_f32 v[20:21], v[68:69], s[42:43], v[22:23]
	v_pk_fma_f32 v[36:37], v[68:69], s[42:43], v[22:23] neg_lo:[1,0,0] neg_hi:[1,0,0]
	v_pk_mul_f32 v[182:183], v[76:77], s[18:19]
	v_mov_b32_e32 v36, v20
	v_pk_add_f32 v[44:45], v[66:67], v[36:37]
	v_pk_fma_f32 v[36:37], v[70:71], s[10:11], v[38:39]
	v_pk_add_f32 v[96:97], v[96:97], v[174:175] neg_lo:[0,1] neg_hi:[0,1]
	v_mov_b32_e32 v46, v36
	v_pk_add_f32 v[48:49], v[46:47], v[44:45]
	v_pk_mul_f32 v[46:47], v[88:89], s[52:53]
	v_mov_b32_e32 v105, v103
	v_pk_fma_f32 v[44:45], v[72:73], s[16:17], v[46:47]
	v_pk_fma_f32 v[50:51], v[72:73], s[16:17], v[46:47] neg_lo:[1,0,0] neg_hi:[1,0,0]
	v_pk_add_f32 v[102:103], v[106:107], v[180:181] neg_lo:[0,1] neg_hi:[0,1]
	v_mov_b32_e32 v50, v44
	v_pk_add_f32 v[52:53], v[50:51], v[48:49]
	v_pk_mul_f32 v[50:51], v[86:87], s[22:23]
	v_pk_mul_f32 v[184:185], v[78:79], s[20:21]
	v_pk_fma_f32 v[48:49], v[74:75], s[12:13], v[50:51]
	v_pk_fma_f32 v[54:55], v[74:75], s[12:13], v[50:51] neg_lo:[1,0,0] neg_hi:[1,0,0]
	v_mov_b32_e32 v95, v97
	v_mov_b32_e32 v54, v48
	v_pk_add_f32 v[56:57], v[54:55], v[52:53]
	v_pk_mul_f32 v[54:55], v[84:85], s[40:41]
	v_pk_add_f32 v[100:101], v[100:101], v[176:177] neg_lo:[0,1] neg_hi:[0,1]
	v_pk_fma_f32 v[52:53], v[76:77], s[24:25], v[54:55]
	v_pk_fma_f32 v[58:59], v[76:77], s[24:25], v[54:55] neg_lo:[1,0,0] neg_hi:[1,0,0]
	v_mov_b32_e32 v109, v103
	v_pk_add_f32 v[102:103], v[110:111], v[182:183] neg_lo:[0,1] neg_hi:[0,1]
	v_pk_mul_f32 v[186:187], v[68:69], s[16:17]
	v_mov_b32_e32 v58, v52
	v_mov_b32_e32 v99, v101
	v_pk_add_f32 v[94:95], v[66:67], v[94:95]
	v_mov_b32_e32 v113, v103
	v_pk_add_f32 v[102:103], v[114:115], v[184:185] neg_lo:[0,1] neg_hi:[0,1]
	v_pk_mul_f32 v[188:189], v[70:71], s[14:15]
	v_pk_add_f32 v[196:197], v[58:59], v[56:57]
	v_pk_mul_f32 v[58:59], v[82:83], s[28:29]
	v_pk_add_f32 v[94:95], v[98:99], v[94:95]
	v_mov_b32_e32 v117, v103
	v_pk_add_f32 v[102:103], v[118:119], v[186:187] neg_lo:[0,1] neg_hi:[0,1]
	v_pk_fma_f32 v[56:57], v[78:79], s[14:15], v[58:59]
	v_pk_fma_f32 v[198:199], v[78:79], s[14:15], v[58:59] neg_lo:[1,0,0] neg_hi:[1,0,0]
	v_pk_add_f32 v[94:95], v[104:105], v[94:95]
	v_mov_b32_e32 v121, v103
	v_pk_add_f32 v[104:105], v[124:125], v[188:189] neg_lo:[0,1] neg_hi:[0,1]
	v_pk_mul_f32 v[192:193], v[74:75], s[20:21]
	v_mov_b32_e32 v198, v56
	v_pk_add_f32 v[102:103], v[66:67], v[120:121]
	v_mov_b32_e32 v123, v105
	v_pk_add_f32 v[104:105], v[126:127], v[190:191] neg_lo:[0,1] neg_hi:[0,1]
	v_pk_add_f32 v[196:197], v[198:199], v[196:197]
	v_pk_mul_f32 v[198:199], v[76:77], s[10:11]
	v_lshl_add_u32 v36, v169, 3, v63
	v_pk_mul_f32 v[96:97], v[72:73], s[20:21]
	v_pk_add_f32 v[102:103], v[122:123], v[102:103]
	v_mov_b32_e32 v129, v105
	v_pk_add_f32 v[104:105], v[132:133], v[192:193] neg_lo:[0,1] neg_hi:[0,1]
	ds_write2_b64 v36, v[194:195], v[196:197] offset1:1
	v_pk_mul_f32 v[194:195], v[78:79], s[24:25]
	v_pk_mul_f32 v[176:177], v[74:75], s[16:17]
	v_pk_add_f32 v[102:103], v[128:129], v[102:103]
	v_mov_b32_e32 v131, v105
	v_pk_add_f32 v[104:105], v[136:137], v[198:199] neg_lo:[0,1] neg_hi:[0,1]
	v_pk_add_f32 v[96:97], v[150:151], v[96:97] neg_lo:[0,1] neg_hi:[0,1]
	v_pk_mul_f32 v[100:101], v[76:77], s[38:39]
	v_pk_add_f32 v[94:95], v[108:109], v[94:95]
	v_pk_add_f32 v[102:103], v[130:131], v[102:103]
	v_mov_b32_e32 v135, v105
	v_pk_add_f32 v[104:105], v[146:147], v[194:195] neg_lo:[0,1] neg_hi:[0,1]
	v_mov_b32_e32 v149, v97
	v_pk_add_f32 v[96:97], v[156:157], v[176:177] neg_lo:[0,1] neg_hi:[0,1]
	v_pk_mul_f32 v[98:99], v[78:79], s[44:45]
	v_pk_add_f32 v[94:95], v[112:113], v[94:95]
	v_pk_add_f32 v[102:103], v[134:135], v[102:103]
	v_mov_b32_e32 v153, v105
	v_mov_b32_e32 v155, v97
	v_pk_add_f32 v[96:97], v[158:159], v[100:101] neg_lo:[0,1] neg_hi:[0,1]
	v_pk_mul_f32 v[174:175], v[70:71], s[48:49]
	v_pk_add_f32 v[94:95], v[116:117], v[94:95]
	v_pk_add_f32 v[102:103], v[152:153], v[102:103]
	v_mov_b32_e32 v161, v97
	v_pk_add_f32 v[96:97], v[164:165], v[98:99] neg_lo:[0,1] neg_hi:[0,1]
	ds_write2_b64 v36, v[94:95], v[102:103] offset0:2 offset1:3
	v_pk_add_f32 v[102:103], v[144:145], v[174:175] neg_lo:[0,1] neg_hi:[0,1]
	v_mov_b32_e32 v163, v97
	v_pk_mul_f32 v[96:97], v[92:93], s[40:41]
	v_mov_b32_e32 v143, v103
	v_pk_fma_f32 v[98:99], v[68:69], s[24:25], v[96:97]
	v_pk_fma_f32 v[100:101], v[68:69], s[24:25], v[96:97] neg_lo:[1,0,0] neg_hi:[1,0,0]
	v_pk_mul_f32 v[102:103], v[90:91], s[26:27]
	v_mov_b32_e32 v100, v98
	v_pk_fma_f32 v[104:105], v[70:71], s[18:19], v[102:103]
	v_pk_fma_f32 v[106:107], v[70:71], s[18:19], v[102:103] neg_lo:[1,0,0] neg_hi:[1,0,0]
	v_pk_add_f32 v[100:101], v[66:67], v[100:101]
	v_mov_b32_e32 v106, v104
	v_pk_add_f32 v[100:101], v[106:107], v[100:101]
	v_pk_mul_f32 v[106:107], v[88:89], s[30:31]
	v_pk_mul_f32 v[196:197], v[68:69], s[12:13]
	v_pk_fma_f32 v[108:109], v[72:73], s[10:11], v[106:107]
	v_pk_fma_f32 v[110:111], v[72:73], s[10:11], v[106:107] neg_lo:[1,0,0] neg_hi:[1,0,0]
	v_pk_add_f32 v[94:95], v[140:141], v[196:197] neg_lo:[0,1] neg_hi:[0,1]
	v_mov_b32_e32 v110, v108
	v_pk_add_f32 v[100:101], v[110:111], v[100:101]
	v_pk_mul_f32 v[110:111], v[86:87], s[50:51]
	v_mov_b32_e32 v139, v95
	v_pk_fma_f32 v[112:113], v[74:75], s[38:39], v[110:111]
	v_pk_fma_f32 v[114:115], v[74:75], s[38:39], v[110:111] neg_lo:[1,0,0] neg_hi:[1,0,0]
	v_pk_add_f32 v[94:95], v[66:67], v[138:139]
	v_mov_b32_e32 v114, v112
	v_pk_add_f32 v[100:101], v[114:115], v[100:101]
	v_pk_mul_f32 v[114:115], v[84:85], s[36:37]
	v_pk_add_f32 v[94:95], v[142:143], v[94:95]
	v_pk_fma_f32 v[116:117], v[76:77], s[20:21], v[114:115]
	v_pk_fma_f32 v[118:119], v[76:77], s[20:21], v[114:115] neg_lo:[1,0,0] neg_hi:[1,0,0]
	v_pk_add_f32 v[94:95], v[148:149], v[94:95]
	v_mov_b32_e32 v118, v116
	v_pk_add_f32 v[100:101], v[118:119], v[100:101]
	v_pk_mul_f32 v[118:119], v[82:83], s[22:23]
	v_pk_add_f32 v[94:95], v[154:155], v[94:95]
	v_pk_fma_f32 v[120:121], v[78:79], s[12:13], v[118:119]
	v_pk_fma_f32 v[122:123], v[78:79], s[12:13], v[118:119] neg_lo:[1,0,0] neg_hi:[1,0,0]
	v_pk_add_f32 v[94:95], v[160:161], v[94:95]
	v_mov_b32_e32 v122, v120
	v_pk_add_f32 v[94:95], v[162:163], v[94:95]
	v_pk_add_f32 v[100:101], v[122:123], v[100:101]
	v_pk_mul_f32 v[92:93], v[92:93], s[28:29]
	ds_write2_b64 v36, v[94:95], v[100:101] offset0:4 offset1:5
	v_pk_fma_f32 v[94:95], v[68:69], s[14:15], v[92:93]
	v_pk_fma_f32 v[100:101], v[68:69], s[14:15], v[92:93] neg_lo:[1,0,0] neg_hi:[1,0,0]
	v_pk_mul_f32 v[90:91], v[90:91], s[36:37]
	v_mov_b32_e32 v100, v94
	v_pk_fma_f32 v[122:123], v[70:71], s[20:21], v[90:91]
	v_pk_fma_f32 v[124:125], v[70:71], s[20:21], v[90:91] neg_lo:[1,0,0] neg_hi:[1,0,0]
	v_pk_add_f32 v[100:101], v[66:67], v[100:101]
	v_mov_b32_e32 v124, v122
	v_pk_mul_f32 v[88:89], v[88:89], s[40:41]
	v_pk_add_f32 v[100:101], v[124:125], v[100:101]
	v_pk_fma_f32 v[124:125], v[72:73], s[24:25], v[88:89]
	v_pk_fma_f32 v[126:127], v[72:73], s[24:25], v[88:89] neg_lo:[1,0,0] neg_hi:[1,0,0]
	v_pk_mul_f32 v[86:87], v[86:87], s[46:47]
	v_mov_b32_e32 v126, v124
	v_pk_fma_f32 v[92:93], v[68:69], s[14:15], v[92:93] neg_lo:[0,0,1] neg_hi:[0,0,1]
	v_pk_add_f32 v[100:101], v[126:127], v[100:101]
	v_pk_fma_f32 v[126:127], v[74:75], s[44:45], v[86:87]
	v_pk_fma_f32 v[128:129], v[74:75], s[44:45], v[86:87] neg_lo:[1,0,0] neg_hi:[1,0,0]
	v_mov_b32_e32 v93, v95
	v_pk_fma_f32 v[90:91], v[70:71], s[20:21], v[90:91] neg_lo:[0,0,1] neg_hi:[0,0,1]
	v_mov_b32_e32 v128, v126
	v_pk_mul_f32 v[84:85], v[84:85], s[22:23]
	v_pk_add_f32 v[92:93], v[66:67], v[92:93]
	v_mov_b32_e32 v91, v123
	v_pk_fma_f32 v[88:89], v[72:73], s[24:25], v[88:89] neg_lo:[0,0,1] neg_hi:[0,0,1]
	v_pk_add_f32 v[100:101], v[128:129], v[100:101]
	v_pk_fma_f32 v[128:129], v[76:77], s[12:13], v[84:85]
	v_pk_fma_f32 v[130:131], v[76:77], s[12:13], v[84:85] neg_lo:[1,0,0] neg_hi:[1,0,0]
	v_pk_add_f32 v[90:91], v[90:91], v[92:93]
	v_mov_b32_e32 v89, v125
	v_pk_fma_f32 v[86:87], v[74:75], s[44:45], v[86:87] neg_lo:[0,0,1] neg_hi:[0,0,1]
	v_mov_b32_e32 v130, v128
	v_pk_mul_f32 v[82:83], v[82:83], s[26:27]
	v_pk_add_f32 v[88:89], v[88:89], v[90:91]
	v_mov_b32_e32 v87, v127
	v_pk_fma_f32 v[84:85], v[76:77], s[12:13], v[84:85] neg_lo:[0,0,1] neg_hi:[0,0,1]
	v_pk_add_f32 v[100:101], v[130:131], v[100:101]
	v_pk_fma_f32 v[130:131], v[78:79], s[18:19], v[82:83]
	v_pk_fma_f32 v[132:133], v[78:79], s[18:19], v[82:83] neg_lo:[1,0,0] neg_hi:[1,0,0]
	v_pk_add_f32 v[86:87], v[86:87], v[88:89]
	v_mov_b32_e32 v85, v129
	v_pk_fma_f32 v[82:83], v[78:79], s[18:19], v[82:83] neg_lo:[0,0,1] neg_hi:[0,0,1]
	v_mov_b32_e32 v132, v130
	v_pk_add_f32 v[84:85], v[84:85], v[86:87]
	v_mov_b32_e32 v83, v131
	v_pk_add_f32 v[100:101], v[132:133], v[100:101]
	v_pk_add_f32 v[82:83], v[82:83], v[84:85]
	v_pk_fma_f32 v[22:23], v[68:69], s[42:43], v[22:23] neg_lo:[0,0,1] neg_hi:[0,0,1]
	ds_write2_b64 v36, v[100:101], v[82:83] offset0:6 offset1:7
	v_pk_fma_f32 v[82:83], v[68:69], s[24:25], v[96:97] neg_lo:[0,0,1] neg_hi:[0,0,1]
	v_mov_b32_e32 v23, v21
	v_mov_b32_e32 v83, v99
	v_pk_fma_f32 v[84:85], v[70:71], s[18:19], v[102:103] neg_lo:[0,0,1] neg_hi:[0,0,1]
	v_pk_add_f32 v[20:21], v[66:67], v[22:23]
	v_pk_fma_f32 v[22:23], v[70:71], s[10:11], v[38:39] neg_lo:[0,0,1] neg_hi:[0,0,1]
	v_pk_add_f32 v[82:83], v[66:67], v[82:83]
	v_mov_b32_e32 v85, v105
	v_mov_b32_e32 v23, v37
	v_pk_add_f32 v[82:83], v[84:85], v[82:83]
	v_pk_fma_f32 v[84:85], v[72:73], s[10:11], v[106:107] neg_lo:[0,0,1] neg_hi:[0,0,1]
	v_pk_add_f32 v[20:21], v[22:23], v[20:21]
	v_pk_fma_f32 v[22:23], v[72:73], s[16:17], v[46:47] neg_lo:[0,0,1] neg_hi:[0,0,1]
	v_mov_b32_e32 v85, v109
	v_mov_b32_e32 v23, v45
	v_pk_add_f32 v[82:83], v[84:85], v[82:83]
	v_pk_fma_f32 v[84:85], v[74:75], s[38:39], v[110:111] neg_lo:[0,0,1] neg_hi:[0,0,1]
	v_pk_add_f32 v[20:21], v[22:23], v[20:21]
	v_pk_fma_f32 v[22:23], v[74:75], s[12:13], v[50:51] neg_lo:[0,0,1] neg_hi:[0,0,1]
	;; [unrolled: 6-line block ×4, first 2 shown]
	v_mov_b32_e32 v85, v121
	v_mov_b32_e32 v23, v57
	v_pk_add_f32 v[82:83], v[84:85], v[82:83]
	v_pk_add_f32 v[20:21], v[22:23], v[20:21]
	ds_write2_b64 v36, v[82:83], v[80:81] offset0:8 offset1:9
	ds_write2_b64 v36, v[40:41], v[42:43] offset0:10 offset1:11
	ds_write_b64 v36, v[20:21] offset:96
.LBB0_17:
	s_or_b64 exec, exec, s[34:35]
	v_mov_b32_e32 v52, v12
	v_mov_b32_e32 v53, v12
	v_add_u32_e32 v12, 0x800, v166
	s_waitcnt lgkmcnt(0)
	s_barrier
	ds_read2_b64 v[44:47], v166 offset1:39
	ds_read2_b64 v[20:23], v166 offset0:78 offset1:130
	ds_read2_b64 v[48:51], v12 offset0:4 offset1:43
	;; [unrolled: 1-line block ×3, first 2 shown]
	ds_read_b64 v[54:55], v166 offset:2704
	v_mov_b32_e32 v70, v8
	v_mov_b32_e32 v71, v8
	;; [unrolled: 1-line block ×16, first 2 shown]
	s_and_saveexec_b64 s[10:11], s[0:1]
	s_cbranch_execz .LBB0_19
; %bb.18:
	v_add_u32_e32 v40, 0x400, v166
	ds_read_b64 v[80:81], v166 offset:936
	ds_read2_b64 v[40:43], v40 offset0:119 offset1:249
.LBB0_19:
	s_or_b64 exec, exec, s[10:11]
	s_waitcnt lgkmcnt(3)
	v_pk_mul_f32 v[8:9], v[8:9], v[22:23]
	s_waitcnt lgkmcnt(2)
	v_pk_mul_f32 v[10:11], v[10:11], v[48:49]
	v_pk_fma_f32 v[72:73], v[70:71], v[22:23], v[8:9] op_sel:[0,0,1] op_sel_hi:[1,1,0]
	v_pk_fma_f32 v[8:9], v[70:71], v[22:23], v[8:9] op_sel:[0,0,1] op_sel_hi:[1,1,0] neg_lo:[0,0,1] neg_hi:[0,0,1]
	s_mov_b32 s10, 0x3f5db3d7
	v_mov_b32_e32 v73, v9
	v_pk_fma_f32 v[8:9], v[68:69], v[48:49], v[10:11] op_sel:[0,0,1] op_sel_hi:[1,1,0]
	v_pk_fma_f32 v[10:11], v[68:69], v[48:49], v[10:11] op_sel:[0,0,1] op_sel_hi:[1,1,0] neg_lo:[0,0,1] neg_hi:[0,0,1]
	s_waitcnt lgkmcnt(1)
	v_pk_mul_f32 v[4:5], v[4:5], v[36:37]
	v_mov_b32_e32 v9, v11
	v_pk_add_f32 v[10:11], v[44:45], v[72:73]
	v_pk_add_f32 v[22:23], v[72:73], v[8:9]
	;; [unrolled: 1-line block ×3, first 2 shown]
	v_pk_add_f32 v[8:9], v[72:73], v[8:9] neg_lo:[0,1] neg_hi:[0,1]
	v_pk_fma_f32 v[22:23], v[22:23], 0.5, v[44:45] op_sel_hi:[1,0,1] neg_lo:[1,0,0] neg_hi:[1,0,0]
	v_pk_mul_f32 v[8:9], v[8:9], s[10:11] op_sel_hi:[1,0]
	v_pk_mul_f32 v[6:7], v[6:7], v[50:51]
	v_pk_add_f32 v[44:45], v[22:23], v[8:9] op_sel:[0,1] op_sel_hi:[1,0] neg_lo:[0,1] neg_hi:[0,1]
	v_pk_add_f32 v[8:9], v[22:23], v[8:9] op_sel:[0,1] op_sel_hi:[1,0]
	s_waitcnt lgkmcnt(0)
	v_mov_b32_e32 v23, v9
	v_mov_b32_e32 v9, v45
	s_barrier
	ds_write_b64 v171, v[8:9] offset:208
	v_pk_fma_f32 v[8:9], v[66:67], v[36:37], v[4:5] op_sel:[0,0,1] op_sel_hi:[1,1,0]
	v_pk_fma_f32 v[4:5], v[66:67], v[36:37], v[4:5] op_sel:[0,0,1] op_sel_hi:[1,1,0] neg_lo:[0,0,1] neg_hi:[0,0,1]
	v_mov_b32_e32 v22, v44
	v_mov_b32_e32 v9, v5
	v_pk_fma_f32 v[4:5], v[58:59], v[50:51], v[6:7] op_sel:[0,0,1] op_sel_hi:[1,1,0]
	v_pk_fma_f32 v[6:7], v[58:59], v[50:51], v[6:7] op_sel:[0,0,1] op_sel_hi:[1,1,0] neg_lo:[0,0,1] neg_hi:[0,0,1]
	ds_write2_b64 v171, v[10:11], v[22:23] offset1:13
	v_mov_b32_e32 v5, v7
	v_pk_add_f32 v[6:7], v[46:47], v[8:9]
	v_pk_add_f32 v[10:11], v[8:9], v[4:5]
	;; [unrolled: 1-line block ×3, first 2 shown]
	v_pk_add_f32 v[4:5], v[8:9], v[4:5] neg_lo:[0,1] neg_hi:[0,1]
	v_pk_fma_f32 v[10:11], v[10:11], 0.5, v[46:47] op_sel_hi:[1,0,1] neg_lo:[1,0,0] neg_hi:[1,0,0]
	v_pk_mul_f32 v[4:5], v[4:5], s[10:11] op_sel_hi:[1,0]
	v_pk_mul_f32 v[12:13], v[12:13], v[38:39]
	v_pk_add_f32 v[8:9], v[10:11], v[4:5] op_sel:[0,1] op_sel_hi:[1,0] neg_lo:[0,1] neg_hi:[0,1]
	v_pk_add_f32 v[4:5], v[10:11], v[4:5] op_sel:[0,1] op_sel_hi:[1,0]
	v_mov_b32_e32 v10, v8
	v_mov_b32_e32 v11, v5
	;; [unrolled: 1-line block ×3, first 2 shown]
	v_pk_mul_f32 v[14:15], v[14:15], v[54:55]
	ds_write2_b64 v170, v[6:7], v[10:11] offset1:13
	ds_write_b64 v170, v[4:5] offset:208
	v_pk_fma_f32 v[4:5], v[52:53], v[38:39], v[12:13] op_sel:[0,0,1] op_sel_hi:[1,1,0]
	v_pk_fma_f32 v[6:7], v[52:53], v[38:39], v[12:13] op_sel:[0,0,1] op_sel_hi:[1,1,0] neg_lo:[0,0,1] neg_hi:[0,0,1]
	v_pk_fma_f32 v[8:9], v[56:57], v[54:55], v[14:15] op_sel:[0,0,1] op_sel_hi:[1,1,0] neg_lo:[0,0,1] neg_hi:[0,0,1]
	v_mov_b32_e32 v5, v7
	v_pk_fma_f32 v[6:7], v[56:57], v[54:55], v[14:15] op_sel:[0,0,1] op_sel_hi:[1,1,0]
	s_nop 0
	v_mov_b32_e32 v7, v9
	v_pk_add_f32 v[8:9], v[20:21], v[4:5]
	v_pk_add_f32 v[10:11], v[4:5], v[6:7]
	v_pk_add_f32 v[4:5], v[4:5], v[6:7] neg_lo:[0,1] neg_hi:[0,1]
	v_pk_fma_f32 v[10:11], v[10:11], 0.5, v[20:21] op_sel_hi:[1,0,1] neg_lo:[1,0,0] neg_hi:[1,0,0]
	v_pk_mul_f32 v[4:5], v[4:5], s[10:11] op_sel_hi:[1,0]
	v_pk_add_f32 v[8:9], v[8:9], v[6:7]
	v_pk_add_f32 v[6:7], v[10:11], v[4:5] op_sel:[0,1] op_sel_hi:[1,0] neg_lo:[0,1] neg_hi:[0,1]
	v_pk_add_f32 v[4:5], v[10:11], v[4:5] op_sel:[0,1] op_sel_hi:[1,0]
	v_mov_b32_e32 v10, v6
	v_mov_b32_e32 v11, v5
	;; [unrolled: 1-line block ×3, first 2 shown]
	ds_write2_b64 v172, v[8:9], v[10:11] offset1:13
	ds_write_b64 v172, v[4:5] offset:208
	s_and_saveexec_b64 s[12:13], s[0:1]
	s_cbranch_execz .LBB0_21
; %bb.20:
	v_pk_mul_f32 v[4:5], v[0:1], v[40:41] op_sel:[0,1]
	v_and_b32_e32 v8, 0xff, v168
	v_pk_mul_f32 v[6:7], v[2:3], v[42:43] op_sel:[0,1]
	v_lshl_add_u32 v10, v8, 3, v63
	v_pk_fma_f32 v[8:9], v[0:1], v[40:41], v[4:5] op_sel:[0,0,1] op_sel_hi:[1,1,0]
	v_pk_fma_f32 v[0:1], v[0:1], v[40:41], v[4:5] op_sel:[0,0,1] op_sel_hi:[1,0,0] neg_lo:[1,0,0] neg_hi:[1,0,0]
	s_nop 0
	v_mov_b32_e32 v9, v1
	v_pk_fma_f32 v[0:1], v[2:3], v[42:43], v[6:7] op_sel:[0,0,1] op_sel_hi:[1,1,0]
	v_pk_fma_f32 v[2:3], v[2:3], v[42:43], v[6:7] op_sel:[0,0,1] op_sel_hi:[1,0,0] neg_lo:[1,0,0] neg_hi:[1,0,0]
	s_nop 0
	v_mov_b32_e32 v1, v3
	v_pk_add_f32 v[2:3], v[80:81], v[8:9]
	v_pk_add_f32 v[4:5], v[8:9], v[0:1]
	;; [unrolled: 1-line block ×3, first 2 shown]
	v_pk_add_f32 v[0:1], v[8:9], v[0:1] neg_lo:[0,1] neg_hi:[0,1]
	v_pk_fma_f32 v[4:5], -0.5, v[4:5], v[80:81] op_sel_hi:[0,1,1]
	v_pk_mul_f32 v[0:1], v[0:1], s[10:11] op_sel_hi:[1,0]
	s_nop 0
	v_pk_add_f32 v[6:7], v[4:5], v[0:1] op_sel:[0,1] op_sel_hi:[1,0] neg_lo:[0,1] neg_hi:[0,1]
	v_pk_add_f32 v[0:1], v[4:5], v[0:1] op_sel:[0,1] op_sel_hi:[1,0]
	v_mov_b32_e32 v4, v6
	v_mov_b32_e32 v5, v1
	v_add_u32_e32 v1, 0x800, v10
	ds_write2_b64 v1, v[2:3], v[4:5] offset0:95 offset1:108
	v_mov_b32_e32 v1, v7
	ds_write_b64 v10, v[0:1] offset:3016
.LBB0_21:
	s_or_b64 exec, exec, s[12:13]
	v_add_u32_e32 v12, 0x800, v166
	s_waitcnt lgkmcnt(0)
	s_barrier
	ds_read2_b64 v[0:3], v166 offset1:39
	ds_read2_b64 v[4:7], v166 offset0:117 offset1:156
	ds_read2_b64 v[8:11], v166 offset0:195 offset1:234
	;; [unrolled: 1-line block ×3, first 2 shown]
	ds_read_b64 v[20:21], v166 offset:624
	ds_read_b64 v[22:23], v166 offset:2808
	s_mov_b32 s0, 0x3e9e377a
	s_waitcnt lgkmcnt(5)
	v_pk_mul_f32 v[36:37], v[32:33], v[2:3] op_sel:[1,0]
	s_mov_b32 s1, 0x3f167918
	v_pk_fma_f32 v[38:39], v[32:33], v[2:3], v[36:37] op_sel:[0,0,1] op_sel_hi:[0,1,0]
	v_pk_fma_f32 v[2:3], v[32:33], v[2:3], v[36:37] op_sel:[0,0,1] op_sel_hi:[0,1,0] neg_lo:[0,0,1] neg_hi:[0,0,1]
	s_waitcnt lgkmcnt(1)
	v_pk_mul_f32 v[32:33], v[34:35], v[20:21] op_sel:[1,0]
	v_mov_b32_e32 v39, v3
	v_pk_fma_f32 v[36:37], v[34:35], v[20:21], v[32:33] op_sel:[0,0,1] op_sel_hi:[1,1,0]
	v_pk_fma_f32 v[20:21], v[34:35], v[20:21], v[32:33] op_sel:[0,0,1] op_sel_hi:[0,1,0] neg_lo:[0,0,1] neg_hi:[0,0,1]
	v_mov_b32_e32 v37, v21
	v_pk_mul_f32 v[20:21], v[28:29], v[4:5] op_sel:[1,0]
	s_mov_b32 s10, 0x3f737871
	v_pk_fma_f32 v[32:33], v[28:29], v[4:5], v[20:21] op_sel:[0,0,1] op_sel_hi:[1,1,0]
	v_pk_fma_f32 v[4:5], v[28:29], v[4:5], v[20:21] op_sel:[0,0,1] op_sel_hi:[0,1,0] neg_lo:[0,0,1] neg_hi:[0,0,1]
	v_pk_mul_f32 v[20:21], v[30:31], v[6:7] op_sel:[1,0]
	v_mov_b32_e32 v34, v32
	v_pk_fma_f32 v[28:29], v[30:31], v[6:7], v[20:21] op_sel:[0,0,1] op_sel_hi:[1,1,0]
	v_pk_fma_f32 v[6:7], v[30:31], v[6:7], v[20:21] op_sel:[0,0,1] op_sel_hi:[0,1,0] neg_lo:[0,0,1] neg_hi:[0,0,1]
	v_mov_b32_e32 v29, v7
	v_pk_mul_f32 v[6:7], v[24:25], v[8:9] op_sel:[1,0]
	v_mov_b32_e32 v33, v5
	v_pk_fma_f32 v[20:21], v[24:25], v[8:9], v[6:7] op_sel:[0,0,1] op_sel_hi:[1,1,0]
	v_pk_fma_f32 v[6:7], v[24:25], v[8:9], v[6:7] op_sel:[0,0,1] op_sel_hi:[0,1,0] neg_lo:[0,0,1] neg_hi:[0,0,1]
	v_pk_mul_f32 v[8:9], v[26:27], v[10:11] op_sel:[1,0]
	v_mov_b32_e32 v40, v20
	v_pk_fma_f32 v[24:25], v[26:27], v[10:11], v[8:9] op_sel:[0,0,1] op_sel_hi:[1,1,0]
	v_pk_fma_f32 v[8:9], v[26:27], v[10:11], v[8:9] op_sel:[0,0,1] op_sel_hi:[0,1,0] neg_lo:[0,0,1] neg_hi:[0,0,1]
	v_mov_b32_e32 v25, v9
	v_pk_mul_f32 v[8:9], v[16:17], v[12:13] op_sel:[1,0]
	v_mov_b32_e32 v21, v7
	v_pk_fma_f32 v[10:11], v[16:17], v[12:13], v[8:9] op_sel:[0,0,1] op_sel_hi:[1,1,0]
	v_pk_fma_f32 v[8:9], v[16:17], v[12:13], v[8:9] op_sel:[0,0,1] op_sel_hi:[0,1,0] neg_lo:[0,0,1] neg_hi:[0,0,1]
	v_pk_mul_f32 v[12:13], v[18:19], v[14:15] op_sel:[1,0]
	v_mov_b32_e32 v41, v10
	v_pk_fma_f32 v[16:17], v[18:19], v[14:15], v[12:13] op_sel:[0,0,1] op_sel_hi:[1,1,0]
	v_pk_fma_f32 v[12:13], v[18:19], v[14:15], v[12:13] op_sel:[0,0,1] op_sel_hi:[0,1,0] neg_lo:[0,0,1] neg_hi:[0,0,1]
	v_mov_b32_e32 v17, v13
	s_waitcnt lgkmcnt(0)
	v_pk_mul_f32 v[12:13], v[64:65], v[22:23] op_sel:[1,0]
	v_mov_b32_e32 v11, v9
	v_pk_fma_f32 v[14:15], v[64:65], v[22:23], v[12:13] op_sel:[0,0,1] op_sel_hi:[1,1,0]
	v_pk_fma_f32 v[12:13], v[64:65], v[22:23], v[12:13] op_sel:[0,0,1] op_sel_hi:[0,1,0] neg_lo:[0,0,1] neg_hi:[0,0,1]
	v_mov_b32_e32 v35, v14
	v_pk_add_f32 v[42:43], v[34:35], v[40:41] neg_lo:[0,1] neg_hi:[0,1]
	v_mov_b32_e32 v15, v13
	v_mov_b32_e32 v2, v43
	v_pk_add_f32 v[22:23], v[20:21], v[10:11]
	v_pk_add_f32 v[30:31], v[20:21], v[10:11] neg_lo:[0,1] neg_hi:[0,1]
	v_pk_add_f32 v[42:43], v[42:43], v[2:3]
	v_fma_f32 v4, -0.5, v22, v38
	v_pk_add_f32 v[26:27], v[32:33], v[14:15] neg_lo:[0,1] neg_hi:[0,1]
	v_mov_b32_e32 v43, v31
	v_fmamk_f32 v6, v27, 0xbf737871, v4
	v_pk_mul_f32 v[42:43], v[42:43], s[0:1]
	v_fmac_f32_e32 v4, 0x3f737871, v27
	v_pk_add_f32 v[34:35], v[40:41], v[34:35] neg_lo:[0,1] neg_hi:[0,1]
	v_sub_f32_e32 v2, v6, v43
	v_add_f32_e32 v4, v43, v4
	v_mov_b32_e32 v6, v35
	v_add_f32_e32 v2, v42, v2
	v_add_f32_e32 v4, v42, v4
	v_pk_add_f32 v[42:43], v[32:33], v[14:15]
	v_mov_b32_e32 v8, v38
	v_pk_add_f32 v[34:35], v[34:35], v[6:7]
	v_fmac_f32_e32 v8, -0.5, v42
	v_mov_b32_e32 v35, v27
	v_fmamk_f32 v12, v31, 0x3f737871, v8
	v_pk_mul_f32 v[34:35], v[34:35], s[0:1]
	v_fmac_f32_e32 v8, 0xbf737871, v31
	v_pk_add_f32 v[32:33], v[38:39], v[32:33]
	v_add_f32_e32 v8, v35, v8
	v_pk_add_f32 v[20:21], v[32:33], v[20:21]
	v_sub_f32_e32 v6, v12, v35
	v_add_f32_e32 v22, v34, v8
	v_pk_add_f32 v[10:11], v[20:21], v[10:11]
	v_mov_b32_e32 v12, v5
	v_mov_b32_e32 v8, v7
	v_pk_add_f32 v[10:11], v[10:11], v[14:15]
	v_pk_add_f32 v[14:15], v[12:13], v[8:9] neg_lo:[0,1] neg_hi:[0,1]
	v_fma_f32 v21, -0.5, v23, v3
	v_mov_b32_e32 v20, v15
	v_pk_add_f32 v[18:19], v[0:1], v[36:37]
	v_pk_add_f32 v[14:15], v[14:15], v[20:21]
	;; [unrolled: 1-line block ×3, first 2 shown]
	v_mov_b32_e32 v15, v30
	v_pk_add_f32 v[8:9], v[8:9], v[12:13] neg_lo:[0,1] neg_hi:[0,1]
	v_pk_add_f32 v[18:19], v[18:19], v[24:25]
	v_fmamk_f32 v23, v26, 0x3f737871, v21
	v_pk_mul_f32 v[14:15], v[14:15], s[0:1]
	v_mov_b32_e32 v12, v9
	v_pk_add_f32 v[18:19], v[18:19], v[16:17]
	v_add_f32_e32 v5, v15, v23
	v_fmac_f32_e32 v21, 0xbf737871, v26
	v_pk_add_f32 v[8:9], v[8:9], v[12:13]
	v_add_f32_e32 v20, v14, v5
	v_sub_f32_e32 v5, v21, v15
	v_fmac_f32_e32 v3, -0.5, v43
	v_mov_b32_e32 v9, v26
	v_pk_add_f32 v[26:27], v[18:19], v[10:11]
	v_add_f32_e32 v14, v14, v5
	v_fmamk_f32 v5, v30, 0xbf737871, v3
	v_fmac_f32_e32 v3, 0x3f737871, v30
	ds_write_b64 v167, v[26:27]
	v_pk_add_f32 v[26:27], v[28:29], v[24:25]
	v_pk_add_f32 v[30:31], v[36:37], v[16:17] neg_lo:[0,1] neg_hi:[0,1]
	s_mov_b32 s14, 0x3f4f1bbd
	v_add_f32_e32 v6, v34, v6
	v_pk_mul_f32 v[8:9], v[8:9], s[0:1]
	v_pk_fma_f32 v[26:27], v[26:27], 0.5, v[0:1] op_sel_hi:[1,0,1] neg_lo:[1,0,0] neg_hi:[1,0,0]
	v_pk_mul_f32 v[32:33], v[30:31], s[10:11] op_sel_hi:[1,0]
	v_pk_add_f32 v[34:35], v[28:29], v[24:25] neg_lo:[0,1] neg_hi:[0,1]
	s_mov_b32 s12, s1
	v_pk_add_f32 v[40:41], v[36:37], v[28:29] neg_lo:[0,1] neg_hi:[0,1]
	v_pk_add_f32 v[42:43], v[16:17], v[24:25] neg_lo:[0,1] neg_hi:[0,1]
	s_mov_b32 s16, s1
	s_mov_b32 s17, s14
	v_add_f32_e32 v5, v9, v5
	v_sub_f32_e32 v3, v3, v9
	v_pk_mul_f32 v[38:39], v[34:35], s[12:13] op_sel_hi:[1,0]
	v_pk_add_f32 v[40:41], v[40:41], v[42:43]
	v_pk_add_f32 v[42:43], v[26:27], v[32:33] op_sel:[0,1] op_sel_hi:[1,0] neg_lo:[0,1] neg_hi:[0,1]
	s_mov_b32 s15, s1
	v_pk_mul_f32 v[20:21], v[20:21], s[16:17] op_sel_hi:[0,1]
	v_add_f32_e32 v12, v8, v5
	v_add_f32_e32 v8, v8, v3
	v_pk_add_f32 v[26:27], v[26:27], v[32:33] op_sel:[0,1] op_sel_hi:[1,0]
	v_pk_add_f32 v[32:33], v[42:43], v[38:39] op_sel:[0,1] op_sel_hi:[1,0] neg_lo:[0,1] neg_hi:[0,1]
	v_pk_fma_f32 v[42:43], v[2:3], s[14:15], v[20:21] neg_lo:[0,0,1] neg_hi:[0,0,1]
	v_pk_fma_f32 v[2:3], v[2:3], s[14:15], v[20:21] op_sel_hi:[0,1,1]
	v_pk_add_f32 v[20:21], v[36:37], v[16:17]
	s_mov_b32 s11, s0
	v_pk_fma_f32 v[0:1], v[20:21], 0.5, v[0:1] op_sel_hi:[1,0,1] neg_lo:[1,0,0] neg_hi:[1,0,0]
	v_pk_add_f32 v[20:21], v[28:29], v[36:37] neg_lo:[0,1] neg_hi:[0,1]
	v_pk_add_f32 v[16:17], v[24:25], v[16:17] neg_lo:[0,1] neg_hi:[0,1]
	s_mov_b32 s14, s0
	s_mov_b32 s15, s10
	v_pk_mul_f32 v[12:13], v[12:13], s[10:11] op_sel_hi:[0,1]
	v_pk_add_f32 v[16:17], v[20:21], v[16:17]
	v_pk_fma_f32 v[20:21], v[6:7], s[14:15], v[12:13] neg_lo:[0,0,1] neg_hi:[0,0,1]
	v_pk_fma_f32 v[6:7], v[6:7], s[14:15], v[12:13] op_sel_hi:[0,1,1]
	v_mov_b32_e32 v21, v7
	v_pk_mul_f32 v[6:7], v[34:35], s[10:11] op_sel_hi:[1,0]
	v_pk_mul_f32 v[12:13], v[30:31], s[12:13] op_sel_hi:[1,0]
	v_pk_add_f32 v[24:25], v[0:1], v[6:7] op_sel:[0,1] op_sel_hi:[1,0]
	v_pk_add_f32 v[0:1], v[0:1], v[6:7] op_sel:[0,1] op_sel_hi:[1,0] neg_lo:[0,1] neg_hi:[0,1]
	v_pk_add_f32 v[26:27], v[26:27], v[38:39] op_sel:[0,1] op_sel_hi:[1,0]
	v_pk_add_f32 v[0:1], v[0:1], v[12:13] op_sel:[0,1] op_sel_hi:[1,0]
	v_pk_add_f32 v[6:7], v[24:25], v[12:13] op_sel:[0,1] op_sel_hi:[1,0] neg_lo:[0,1] neg_hi:[0,1]
	v_mov_b32_e32 v38, v32
	v_mov_b32_e32 v39, v27
	;; [unrolled: 1-line block ×4, first 2 shown]
	v_pk_fma_f32 v[38:39], v[40:41], s[0:1], v[38:39] op_sel_hi:[1,0,1]
	v_mov_b32_e32 v43, v3
	v_pk_fma_f32 v[12:13], v[16:17], s[0:1], v[12:13] op_sel_hi:[1,0,1]
	v_pk_add_f32 v[2:3], v[38:39], v[42:43]
	v_pk_add_f32 v[24:25], v[12:13], v[20:21]
	ds_write2_b64 v167, v[2:3], v[24:25] offset0:39 offset1:78
	s_mov_b32 s12, 0xbe9e377a
	s_mov_b32 s13, s10
	v_pk_mul_f32 v[2:3], v[8:9], s[10:11] op_sel_hi:[0,1]
	v_mov_b32_e32 v1, v7
	s_mov_b32 s10, 0xbf4f1bbd
	s_mov_b32 s11, s1
	v_pk_mul_f32 v[8:9], v[14:15], s[16:17] op_sel_hi:[0,1]
	v_mov_b32_e32 v27, v33
	v_pk_fma_f32 v[2:3], v[22:23], s[12:13], v[2:3] op_sel_hi:[0,1,1] neg_lo:[0,0,1] neg_hi:[0,0,1]
	v_pk_fma_f32 v[0:1], v[16:17], s[0:1], v[0:1] op_sel_hi:[1,0,1]
	v_pk_fma_f32 v[4:5], v[4:5], s[10:11], v[8:9] op_sel_hi:[0,1,1] neg_lo:[0,0,1] neg_hi:[0,0,1]
	v_pk_fma_f32 v[8:9], v[40:41], s[0:1], v[26:27] op_sel_hi:[1,0,1]
	v_pk_add_f32 v[6:7], v[0:1], v[2:3]
	v_pk_add_f32 v[14:15], v[8:9], v[4:5]
	ds_write2_b64 v167, v[6:7], v[14:15] offset0:117 offset1:156
	v_pk_add_f32 v[6:7], v[18:19], v[10:11] neg_lo:[0,1] neg_hi:[0,1]
	v_pk_add_f32 v[10:11], v[38:39], v[42:43] neg_lo:[0,1] neg_hi:[0,1]
	ds_write2_b64 v167, v[6:7], v[10:11] offset0:195 offset1:234
	v_pk_add_f32 v[6:7], v[12:13], v[20:21] neg_lo:[0,1] neg_hi:[0,1]
	v_pk_add_f32 v[2:3], v[0:1], v[2:3] neg_lo:[0,1] neg_hi:[0,1]
	v_add_u32_e32 v0, 0x800, v167
	ds_write2_b64 v0, v[6:7], v[2:3] offset0:17 offset1:56
	v_pk_add_f32 v[2:3], v[8:9], v[4:5] neg_lo:[0,1] neg_hi:[0,1]
	ds_write_b64 v167, v[2:3] offset:2808
	s_waitcnt lgkmcnt(0)
	s_barrier
	s_and_b64 exec, exec, vcc
	s_cbranch_execz .LBB0_23
; %bb.22:
	global_load_dwordx2 v[10:11], v61, s[2:3]
	global_load_dwordx2 v[12:13], v61, s[2:3] offset:240
	global_load_dwordx2 v[14:15], v61, s[2:3] offset:480
	;; [unrolled: 1-line block ×4, first 2 shown]
	ds_read_b64 v[24:25], v167
	ds_read2_b64 v[2:5], v167 offset0:30 offset1:60
	ds_read2_b64 v[6:9], v167 offset0:90 offset1:120
	global_load_dwordx2 v[28:29], v61, s[2:3] offset:1200
	global_load_dwordx2 v[30:31], v61, s[2:3] offset:1440
	;; [unrolled: 1-line block ×3, first 2 shown]
	v_mov_b32_e32 v18, s8
	v_mov_b32_e32 v19, s9
	v_mad_u64_u32 v[26:27], s[8:9], s4, v62, 0
	v_mov_b32_e32 v36, v27
	v_mad_u64_u32 v[36:37], s[8:9], s5, v62, v[36:37]
	;; [unrolled: 2-line block ×4, first 2 shown]
	v_mov_b32_e32 v23, v34
	v_lshl_add_u64 v[18:19], v[22:23], 3, v[18:19]
	s_mov_b32 s0, 0x15015015
	v_mov_b32_e32 v38, 0xf0
	v_lshl_add_u64 v[18:19], v[26:27], 3, v[18:19]
	s_mov_b32 s1, 0x3f650150
	s_mul_i32 s6, s5, 0xf0
	v_mad_u64_u32 v[22:23], s[8:9], s4, v38, v[18:19]
	v_add_u32_e32 v23, s6, v23
	v_mad_u64_u32 v[26:27], s[8:9], s4, v38, v[22:23]
	v_add_u32_e32 v27, s6, v27
	;; [unrolled: 2-line block ×3, first 2 shown]
	s_waitcnt vmcnt(7) lgkmcnt(2)
	v_mul_f32_e32 v1, v25, v11
	s_waitcnt vmcnt(6) lgkmcnt(1)
	v_mul_f32_e32 v36, v3, v13
	s_waitcnt vmcnt(5)
	v_mul_f32_e32 v37, v5, v15
	v_mul_f32_e32 v11, v24, v11
	v_mul_f32_e32 v13, v2, v13
	s_waitcnt vmcnt(4) lgkmcnt(0)
	v_mul_f32_e32 v39, v7, v17
	v_mul_f32_e32 v17, v6, v17
	v_fmac_f32_e32 v36, v2, v12
	v_fmac_f32_e32 v37, v4, v14
	;; [unrolled: 1-line block ×3, first 2 shown]
	v_fma_f32 v10, v10, v25, -v11
	v_fma_f32 v11, v12, v3, -v13
	v_fmac_f32_e32 v39, v6, v16
	v_fma_f32 v24, v16, v7, -v17
	v_cvt_f64_f32_e32 v[6:7], v36
	v_cvt_f64_f32_e32 v[12:13], v37
	global_load_dwordx2 v[36:37], v61, s[2:3] offset:1920
	v_mul_f32_e32 v15, v4, v15
	v_fma_f32 v14, v14, v5, -v15
	v_cvt_f64_f32_e32 v[2:3], v1
	v_cvt_f64_f32_e32 v[4:5], v10
	v_mul_f64 v[2:3], v[2:3], s[0:1]
	v_mul_f64 v[4:5], v[4:5], s[0:1]
	;; [unrolled: 1-line block ×4, first 2 shown]
	v_cvt_f32_f64_e32 v2, v[2:3]
	v_cvt_f32_f64_e32 v3, v[4:5]
	;; [unrolled: 1-line block ×4, first 2 shown]
	global_load_dwordx2 v[12:13], v61, s[2:3] offset:2160
	v_cvt_f64_f32_e32 v[10:11], v11
	v_cvt_f64_f32_e32 v[14:15], v14
	;; [unrolled: 1-line block ×4, first 2 shown]
	s_waitcnt vmcnt(5)
	v_mul_f32_e32 v1, v9, v21
	v_mul_f64 v[10:11], v[10:11], s[0:1]
	v_mul_f64 v[14:15], v[14:15], s[0:1]
	;; [unrolled: 1-line block ×4, first 2 shown]
	v_fmac_f32_e32 v1, v8, v20
	v_cvt_f32_f64_e32 v5, v[10:11]
	v_cvt_f32_f64_e32 v7, v[14:15]
	;; [unrolled: 1-line block ×4, first 2 shown]
	global_store_dwordx2 v[18:19], v[2:3], off
	global_store_dwordx2 v[22:23], v[4:5], off
	;; [unrolled: 1-line block ×4, first 2 shown]
	v_cvt_f64_f32_e32 v[2:3], v1
	v_mul_f32_e32 v1, v8, v21
	v_fma_f32 v1, v20, v9, -v1
	global_load_dwordx2 v[8:9], v61, s[2:3] offset:2400
	global_load_dwordx2 v[14:15], v61, s[2:3] offset:2640
	v_mul_f64 v[2:3], v[2:3], s[0:1]
	v_cvt_f32_f64_e32 v6, v[2:3]
	v_cvt_f64_f32_e32 v[2:3], v1
	v_mul_f64 v[2:3], v[2:3], s[0:1]
	v_cvt_f32_f64_e32 v7, v[2:3]
	ds_read2_b64 v[2:5], v167 offset0:150 offset1:180
	v_mad_u64_u32 v[10:11], s[8:9], s4, v38, v[34:35]
	v_add_u32_e32 v11, s6, v11
	global_store_dwordx2 v[10:11], v[6:7], off
	s_waitcnt vmcnt(11) lgkmcnt(0)
	v_mul_f32_e32 v1, v3, v29
	v_fmac_f32_e32 v1, v2, v28
	v_cvt_f64_f32_e32 v[6:7], v1
	v_mul_f32_e32 v1, v2, v29
	v_fma_f32 v1, v28, v3, -v1
	v_cvt_f64_f32_e32 v[2:3], v1
	s_waitcnt vmcnt(10)
	v_mul_f32_e32 v1, v5, v31
	v_mul_f64 v[6:7], v[6:7], s[0:1]
	v_mul_f64 v[2:3], v[2:3], s[0:1]
	v_fmac_f32_e32 v1, v4, v30
	v_cvt_f32_f64_e32 v6, v[6:7]
	v_cvt_f32_f64_e32 v7, v[2:3]
	v_mad_u64_u32 v[10:11], s[8:9], s4, v38, v[10:11]
	v_cvt_f64_f32_e32 v[2:3], v1
	v_mul_f32_e32 v1, v4, v31
	v_add_u32_e32 v11, s6, v11
	v_mul_f64 v[2:3], v[2:3], s[0:1]
	v_fma_f32 v1, v30, v5, -v1
	global_store_dwordx2 v[10:11], v[6:7], off
	v_cvt_f32_f64_e32 v6, v[2:3]
	v_cvt_f64_f32_e32 v[2:3], v1
	v_mul_f64 v[2:3], v[2:3], s[0:1]
	v_cvt_f32_f64_e32 v7, v[2:3]
	ds_read2_b64 v[2:5], v167 offset0:210 offset1:240
	v_mad_u64_u32 v[10:11], s[8:9], s4, v38, v[10:11]
	v_add_u32_e32 v11, s6, v11
	global_store_dwordx2 v[10:11], v[6:7], off
	s_waitcnt vmcnt(11) lgkmcnt(0)
	v_mul_f32_e32 v1, v3, v33
	v_fmac_f32_e32 v1, v2, v32
	v_cvt_f64_f32_e32 v[6:7], v1
	v_mul_f32_e32 v1, v2, v33
	v_fma_f32 v1, v32, v3, -v1
	v_cvt_f64_f32_e32 v[2:3], v1
	v_mul_f64 v[6:7], v[6:7], s[0:1]
	s_waitcnt vmcnt(10)
	v_mul_f32_e32 v1, v5, v37
	v_mul_f64 v[2:3], v[2:3], s[0:1]
	v_fmac_f32_e32 v1, v4, v36
	v_cvt_f32_f64_e32 v6, v[6:7]
	v_cvt_f32_f64_e32 v7, v[2:3]
	v_mad_u64_u32 v[10:11], s[8:9], s4, v38, v[10:11]
	v_cvt_f64_f32_e32 v[2:3], v1
	v_mul_f32_e32 v1, v4, v37
	v_add_u32_e32 v11, s6, v11
	v_mul_f64 v[2:3], v[2:3], s[0:1]
	v_fma_f32 v1, v36, v5, -v1
	global_store_dwordx2 v[10:11], v[6:7], off
	v_cvt_f32_f64_e32 v6, v[2:3]
	v_cvt_f64_f32_e32 v[2:3], v1
	v_mul_f64 v[2:3], v[2:3], s[0:1]
	v_cvt_f32_f64_e32 v7, v[2:3]
	ds_read2_b64 v[2:5], v0 offset0:14 offset1:44
	v_mad_u64_u32 v[10:11], s[8:9], s4, v38, v[10:11]
	v_add_u32_e32 v11, s6, v11
	global_store_dwordx2 v[10:11], v[6:7], off
	s_waitcnt vmcnt(11) lgkmcnt(0)
	v_mul_f32_e32 v1, v3, v13
	v_fmac_f32_e32 v1, v2, v12
	v_cvt_f64_f32_e32 v[6:7], v1
	v_mul_f32_e32 v1, v2, v13
	v_fma_f32 v1, v12, v3, -v1
	v_cvt_f64_f32_e32 v[2:3], v1
	v_mul_f64 v[6:7], v[6:7], s[0:1]
	v_mul_f64 v[2:3], v[2:3], s[0:1]
	v_cvt_f32_f64_e32 v6, v[6:7]
	v_cvt_f32_f64_e32 v7, v[2:3]
	s_waitcnt vmcnt(6)
	v_mul_f32_e32 v1, v5, v9
	v_fmac_f32_e32 v1, v4, v8
	v_mad_u64_u32 v[10:11], s[8:9], s4, v38, v[10:11]
	v_cvt_f64_f32_e32 v[2:3], v1
	v_mul_f32_e32 v1, v4, v9
	v_add_u32_e32 v11, s6, v11
	v_mul_f64 v[2:3], v[2:3], s[0:1]
	v_fma_f32 v1, v8, v5, -v1
	global_store_dwordx2 v[10:11], v[6:7], off
	v_cvt_f32_f64_e32 v6, v[2:3]
	v_cvt_f64_f32_e32 v[2:3], v1
	v_mul_f64 v[2:3], v[2:3], s[0:1]
	v_cvt_f32_f64_e32 v7, v[2:3]
	ds_read2_b64 v[0:3], v0 offset0:74 offset1:104
	v_mad_u64_u32 v[4:5], s[8:9], s4, v38, v[10:11]
	v_add_u32_e32 v5, s6, v5
	global_store_dwordx2 v[4:5], v[6:7], off
	s_waitcnt vmcnt(7) lgkmcnt(0)
	v_mul_f32_e32 v6, v1, v15
	v_fmac_f32_e32 v6, v0, v14
	v_mul_f32_e32 v0, v0, v15
	v_fma_f32 v0, v14, v1, -v0
	v_cvt_f64_f32_e32 v[6:7], v6
	v_cvt_f64_f32_e32 v[0:1], v0
	v_mul_f64 v[6:7], v[6:7], s[0:1]
	v_mul_f64 v[0:1], v[0:1], s[0:1]
	v_cvt_f32_f64_e32 v6, v[6:7]
	v_cvt_f32_f64_e32 v7, v[0:1]
	v_mad_u64_u32 v[0:1], s[8:9], s4, v38, v[4:5]
	v_add_u32_e32 v1, s6, v1
	global_store_dwordx2 v[0:1], v[6:7], off
	global_load_dwordx2 v[4:5], v61, s[2:3] offset:2880
	s_waitcnt vmcnt(0)
	v_mul_f32_e32 v6, v3, v5
	v_fmac_f32_e32 v6, v2, v4
	v_mul_f32_e32 v2, v2, v5
	v_fma_f32 v2, v4, v3, -v2
	v_cvt_f64_f32_e32 v[6:7], v6
	v_cvt_f64_f32_e32 v[2:3], v2
	v_mul_f64 v[6:7], v[6:7], s[0:1]
	v_mul_f64 v[2:3], v[2:3], s[0:1]
	v_mad_u64_u32 v[0:1], s[0:1], s4, v38, v[0:1]
	v_cvt_f32_f64_e32 v6, v[6:7]
	v_cvt_f32_f64_e32 v7, v[2:3]
	v_add_u32_e32 v1, s6, v1
	global_store_dwordx2 v[0:1], v[6:7], off
.LBB0_23:
	s_endpgm
	.section	.rodata,"a",@progbits
	.p2align	6, 0x0
	.amdhsa_kernel bluestein_single_back_len390_dim1_sp_op_CI_CI
		.amdhsa_group_segment_fixed_size 9360
		.amdhsa_private_segment_fixed_size 0
		.amdhsa_kernarg_size 104
		.amdhsa_user_sgpr_count 2
		.amdhsa_user_sgpr_dispatch_ptr 0
		.amdhsa_user_sgpr_queue_ptr 0
		.amdhsa_user_sgpr_kernarg_segment_ptr 1
		.amdhsa_user_sgpr_dispatch_id 0
		.amdhsa_user_sgpr_kernarg_preload_length 0
		.amdhsa_user_sgpr_kernarg_preload_offset 0
		.amdhsa_user_sgpr_private_segment_size 0
		.amdhsa_uses_dynamic_stack 0
		.amdhsa_enable_private_segment 0
		.amdhsa_system_sgpr_workgroup_id_x 1
		.amdhsa_system_sgpr_workgroup_id_y 0
		.amdhsa_system_sgpr_workgroup_id_z 0
		.amdhsa_system_sgpr_workgroup_info 0
		.amdhsa_system_vgpr_workitem_id 0
		.amdhsa_next_free_vgpr 200
		.amdhsa_next_free_sgpr 56
		.amdhsa_accum_offset 200
		.amdhsa_reserve_vcc 1
		.amdhsa_float_round_mode_32 0
		.amdhsa_float_round_mode_16_64 0
		.amdhsa_float_denorm_mode_32 3
		.amdhsa_float_denorm_mode_16_64 3
		.amdhsa_dx10_clamp 1
		.amdhsa_ieee_mode 1
		.amdhsa_fp16_overflow 0
		.amdhsa_tg_split 0
		.amdhsa_exception_fp_ieee_invalid_op 0
		.amdhsa_exception_fp_denorm_src 0
		.amdhsa_exception_fp_ieee_div_zero 0
		.amdhsa_exception_fp_ieee_overflow 0
		.amdhsa_exception_fp_ieee_underflow 0
		.amdhsa_exception_fp_ieee_inexact 0
		.amdhsa_exception_int_div_zero 0
	.end_amdhsa_kernel
	.text
.Lfunc_end0:
	.size	bluestein_single_back_len390_dim1_sp_op_CI_CI, .Lfunc_end0-bluestein_single_back_len390_dim1_sp_op_CI_CI
                                        ; -- End function
	.section	.AMDGPU.csdata,"",@progbits
; Kernel info:
; codeLenInByte = 12916
; NumSgprs: 62
; NumVgprs: 200
; NumAgprs: 0
; TotalNumVgprs: 200
; ScratchSize: 0
; MemoryBound: 0
; FloatMode: 240
; IeeeMode: 1
; LDSByteSize: 9360 bytes/workgroup (compile time only)
; SGPRBlocks: 7
; VGPRBlocks: 24
; NumSGPRsForWavesPerEU: 62
; NumVGPRsForWavesPerEU: 200
; AccumOffset: 200
; Occupancy: 2
; WaveLimiterHint : 1
; COMPUTE_PGM_RSRC2:SCRATCH_EN: 0
; COMPUTE_PGM_RSRC2:USER_SGPR: 2
; COMPUTE_PGM_RSRC2:TRAP_HANDLER: 0
; COMPUTE_PGM_RSRC2:TGID_X_EN: 1
; COMPUTE_PGM_RSRC2:TGID_Y_EN: 0
; COMPUTE_PGM_RSRC2:TGID_Z_EN: 0
; COMPUTE_PGM_RSRC2:TIDIG_COMP_CNT: 0
; COMPUTE_PGM_RSRC3_GFX90A:ACCUM_OFFSET: 49
; COMPUTE_PGM_RSRC3_GFX90A:TG_SPLIT: 0
	.text
	.p2alignl 6, 3212836864
	.fill 256, 4, 3212836864
	.type	__hip_cuid_11dbbd2d45dd21e0,@object ; @__hip_cuid_11dbbd2d45dd21e0
	.section	.bss,"aw",@nobits
	.globl	__hip_cuid_11dbbd2d45dd21e0
__hip_cuid_11dbbd2d45dd21e0:
	.byte	0                               ; 0x0
	.size	__hip_cuid_11dbbd2d45dd21e0, 1

	.ident	"AMD clang version 19.0.0git (https://github.com/RadeonOpenCompute/llvm-project roc-6.4.0 25133 c7fe45cf4b819c5991fe208aaa96edf142730f1d)"
	.section	".note.GNU-stack","",@progbits
	.addrsig
	.addrsig_sym __hip_cuid_11dbbd2d45dd21e0
	.amdgpu_metadata
---
amdhsa.kernels:
  - .agpr_count:     0
    .args:
      - .actual_access:  read_only
        .address_space:  global
        .offset:         0
        .size:           8
        .value_kind:     global_buffer
      - .actual_access:  read_only
        .address_space:  global
        .offset:         8
        .size:           8
        .value_kind:     global_buffer
      - .actual_access:  read_only
        .address_space:  global
        .offset:         16
        .size:           8
        .value_kind:     global_buffer
      - .actual_access:  read_only
        .address_space:  global
        .offset:         24
        .size:           8
        .value_kind:     global_buffer
      - .actual_access:  read_only
        .address_space:  global
        .offset:         32
        .size:           8
        .value_kind:     global_buffer
      - .offset:         40
        .size:           8
        .value_kind:     by_value
      - .address_space:  global
        .offset:         48
        .size:           8
        .value_kind:     global_buffer
      - .address_space:  global
        .offset:         56
        .size:           8
        .value_kind:     global_buffer
      - .address_space:  global
        .offset:         64
        .size:           8
        .value_kind:     global_buffer
      - .address_space:  global
        .offset:         72
        .size:           8
        .value_kind:     global_buffer
      - .offset:         80
        .size:           4
        .value_kind:     by_value
      - .address_space:  global
        .offset:         88
        .size:           8
        .value_kind:     global_buffer
      - .address_space:  global
        .offset:         96
        .size:           8
        .value_kind:     global_buffer
    .group_segment_fixed_size: 9360
    .kernarg_segment_align: 8
    .kernarg_segment_size: 104
    .language:       OpenCL C
    .language_version:
      - 2
      - 0
    .max_flat_workgroup_size: 117
    .name:           bluestein_single_back_len390_dim1_sp_op_CI_CI
    .private_segment_fixed_size: 0
    .sgpr_count:     62
    .sgpr_spill_count: 0
    .symbol:         bluestein_single_back_len390_dim1_sp_op_CI_CI.kd
    .uniform_work_group_size: 1
    .uses_dynamic_stack: false
    .vgpr_count:     200
    .vgpr_spill_count: 0
    .wavefront_size: 64
amdhsa.target:   amdgcn-amd-amdhsa--gfx950
amdhsa.version:
  - 1
  - 2
...

	.end_amdgpu_metadata
